;; amdgpu-corpus repo=ROCm/rocFFT kind=compiled arch=gfx906 opt=O3
	.text
	.amdgcn_target "amdgcn-amd-amdhsa--gfx906"
	.amdhsa_code_object_version 6
	.protected	bluestein_single_fwd_len1617_dim1_dp_op_CI_CI ; -- Begin function bluestein_single_fwd_len1617_dim1_dp_op_CI_CI
	.globl	bluestein_single_fwd_len1617_dim1_dp_op_CI_CI
	.p2align	8
	.type	bluestein_single_fwd_len1617_dim1_dp_op_CI_CI,@function
bluestein_single_fwd_len1617_dim1_dp_op_CI_CI: ; @bluestein_single_fwd_len1617_dim1_dp_op_CI_CI
; %bb.0:
	s_load_dwordx4 s[8:11], s[4:5], 0x28
	s_mov_b64 s[46:47], s[2:3]
	v_mul_u32_u24_e32 v1, 0x11c, v0
	s_mov_b64 s[44:45], s[0:1]
	v_add_u32_sdwa v203, s6, v1 dst_sel:DWORD dst_unused:UNUSED_PAD src0_sel:DWORD src1_sel:WORD_1
	v_mov_b32_e32 v204, 0
	s_add_u32 s44, s44, s7
	s_waitcnt lgkmcnt(0)
	v_cmp_gt_u64_e32 vcc, s[8:9], v[203:204]
	s_addc_u32 s45, s45, 0
	s_and_saveexec_b64 s[0:1], vcc
	s_cbranch_execz .LBB0_23
; %bb.1:
	s_load_dwordx4 s[12:15], s[4:5], 0x18
	s_movk_i32 s6, 0xe7
	v_mul_lo_u16_sdwa v1, v1, s6 dst_sel:DWORD dst_unused:UNUSED_PAD src0_sel:WORD_1 src1_sel:DWORD
	v_sub_u16_e32 v158, v0, v1
	v_lshlrev_b32_e32 v255, 4, v158
	s_waitcnt lgkmcnt(0)
	s_load_dwordx4 s[0:3], s[12:13], 0x0
	s_waitcnt lgkmcnt(0)
	v_mad_u64_u32 v[0:1], s[6:7], s2, v203, 0
	v_mad_u64_u32 v[2:3], s[6:7], s0, v158, 0
	s_load_dwordx2 s[12:13], s[4:5], 0x0
	s_mul_i32 s6, s1, 0x21b
	v_mad_u64_u32 v[4:5], s[2:3], s3, v203, v[1:2]
	s_mul_hi_u32 s7, s0, 0x21b
	s_add_i32 s7, s7, s6
	v_mad_u64_u32 v[5:6], s[2:3], s1, v158, v[3:4]
	v_mov_b32_e32 v1, v4
	v_lshlrev_b64 v[0:1], 4, v[0:1]
	v_mov_b32_e32 v6, s11
	v_mov_b32_e32 v3, v5
	v_add_co_u32_e32 v4, vcc, s10, v0
	v_addc_co_u32_e32 v5, vcc, v6, v1, vcc
	v_lshlrev_b64 v[0:1], 4, v[2:3]
	s_waitcnt lgkmcnt(0)
	v_mov_b32_e32 v2, s13
	v_add_co_u32_e32 v0, vcc, v4, v0
	v_add_co_u32_e64 v156, s[2:3], s12, v255
	s_mul_i32 s6, s0, 0x21b
	v_addc_co_u32_e32 v1, vcc, v5, v1, vcc
	v_addc_co_u32_e64 v157, vcc, 0, v2, s[2:3]
	s_lshl_b64 s[16:17], s[6:7], 4
	v_mov_b32_e32 v2, s17
	v_add_co_u32_e32 v4, vcc, s16, v0
	v_addc_co_u32_e32 v5, vcc, v1, v2, vcc
	s_movk_i32 s6, 0x2000
	global_load_dwordx4 v[28:31], v[0:1], off
	global_load_dwordx4 v[32:35], v[4:5], off
	v_add_co_u32_e32 v0, vcc, s6, v156
	v_addc_co_u32_e32 v1, vcc, 0, v157, vcc
	v_add_co_u32_e32 v8, vcc, s16, v4
	v_addc_co_u32_e32 v9, vcc, v5, v2, vcc
	s_movk_i32 s6, 0x4000
	v_add_co_u32_e32 v4, vcc, s6, v156
	v_addc_co_u32_e32 v5, vcc, 0, v157, vcc
	global_load_dwordx4 v[18:21], v[0:1], off offset:432
	global_load_dwordx4 v[215:218], v[4:5], off offset:864
	global_load_dwordx4 v[36:39], v[8:9], off
	s_nop 0
	global_load_dwordx4 v[4:7], v255, s[12:13]
	global_load_dwordx4 v[219:222], v255, s[12:13] offset:3696
	s_mul_hi_u32 s6, s0, 0xfffffcb1
	s_mulk_i32 s1, 0xfcb1
	s_sub_i32 s6, s6, s0
	s_add_i32 s1, s6, s1
	s_mulk_i32 s0, 0xfcb1
	s_lshl_b64 s[18:19], s[0:1], 4
	v_mov_b32_e32 v0, s19
	v_add_co_u32_e32 v12, vcc, s18, v8
	v_addc_co_u32_e32 v13, vcc, v9, v0, vcc
	v_add_co_u32_e32 v16, vcc, s16, v12
	v_addc_co_u32_e32 v17, vcc, v13, v2, vcc
	s_movk_i32 s0, 0x3000
	v_add_co_u32_e32 v24, vcc, s0, v156
	v_addc_co_u32_e32 v25, vcc, 0, v157, vcc
	v_add_co_u32_e32 v26, vcc, s16, v16
	v_addc_co_u32_e32 v27, vcc, v17, v2, vcc
	s_movk_i32 s0, 0x5000
	v_add_co_u32_e32 v52, vcc, s0, v156
	v_addc_co_u32_e32 v53, vcc, 0, v157, vcc
	global_load_dwordx4 v[40:43], v[12:13], off
	global_load_dwordx4 v[44:47], v[16:17], off
	global_load_dwordx4 v[223:226], v[24:25], off offset:32
	global_load_dwordx4 v[0:3], v[52:53], off offset:464
	global_load_dwordx4 v[48:51], v[26:27], off
	s_movk_i32 s0, 0x4d
	v_cmp_gt_u16_e64 s[0:1], s0, v158
	s_waitcnt vmcnt(9)
	v_mul_f64 v[56:57], v[34:35], v[20:21]
	v_mul_f64 v[58:59], v[32:33], v[20:21]
	s_waitcnt vmcnt(6)
	v_mul_f64 v[52:53], v[30:31], v[6:7]
	v_mul_f64 v[54:55], v[28:29], v[6:7]
	;; [unrolled: 1-line block ×4, first 2 shown]
	v_fma_f64 v[32:33], v[32:33], v[18:19], v[56:57]
	v_fma_f64 v[28:29], v[28:29], v[4:5], v[52:53]
	buffer_store_dword v4, off, s[44:47], 0 offset:16 ; 4-byte Folded Spill
	s_nop 0
	buffer_store_dword v5, off, s[44:47], 0 offset:20 ; 4-byte Folded Spill
	buffer_store_dword v6, off, s[44:47], 0 offset:24 ; 4-byte Folded Spill
	buffer_store_dword v7, off, s[44:47], 0 offset:28 ; 4-byte Folded Spill
	buffer_store_dword v18, off, s[44:47], 0 offset:32 ; 4-byte Folded Spill
	s_nop 0
	buffer_store_dword v19, off, s[44:47], 0 offset:36 ; 4-byte Folded Spill
	buffer_store_dword v20, off, s[44:47], 0 offset:40 ; 4-byte Folded Spill
	;; [unrolled: 1-line block ×3, first 2 shown]
	v_fma_f64 v[36:37], v[36:37], v[215:216], v[60:61]
	v_fma_f64 v[38:39], v[38:39], v[215:216], -v[62:63]
	s_waitcnt vmcnt(12)
	v_mul_f64 v[64:65], v[42:43], v[221:222]
	v_mul_f64 v[66:67], v[40:41], v[221:222]
	s_waitcnt vmcnt(10)
	v_mul_f64 v[68:69], v[46:47], v[225:226]
	s_waitcnt vmcnt(8)
	v_mul_f64 v[52:53], v[50:51], v[2:3]
	v_mul_f64 v[70:71], v[44:45], v[225:226]
	v_fma_f64 v[40:41], v[40:41], v[219:220], v[64:65]
	v_fma_f64 v[42:43], v[42:43], v[219:220], -v[66:67]
	v_fma_f64 v[44:45], v[44:45], v[223:224], v[68:69]
	v_fma_f64 v[46:47], v[46:47], v[223:224], -v[70:71]
	v_fma_f64 v[30:31], v[30:31], v[4:5], -v[54:55]
	v_mul_f64 v[54:55], v[48:49], v[2:3]
	v_fma_f64 v[48:49], v[48:49], v[0:1], v[52:53]
	buffer_store_dword v0, off, s[44:47], 0 ; 4-byte Folded Spill
	s_nop 0
	buffer_store_dword v1, off, s[44:47], 0 offset:4 ; 4-byte Folded Spill
	buffer_store_dword v2, off, s[44:47], 0 offset:8 ; 4-byte Folded Spill
	buffer_store_dword v3, off, s[44:47], 0 offset:12 ; 4-byte Folded Spill
	v_fma_f64 v[34:35], v[34:35], v[18:19], -v[58:59]
	s_load_dwordx2 s[6:7], s[4:5], 0x38
	s_load_dwordx4 s[8:11], s[14:15], 0x0
	v_fma_f64 v[50:51], v[50:51], v[0:1], -v[54:55]
	ds_write_b128 v255, v[28:31]
	ds_write_b128 v255, v[32:35] offset:8624
	ds_write_b128 v255, v[36:39] offset:17248
	;; [unrolled: 1-line block ×5, first 2 shown]
	s_and_saveexec_b64 s[14:15], s[0:1]
	s_cbranch_execz .LBB0_3
; %bb.2:
	v_mov_b32_e32 v0, s19
	v_add_co_u32_e32 v34, vcc, s18, v26
	v_addc_co_u32_e32 v35, vcc, v27, v0, vcc
	v_add_co_u32_e32 v30, vcc, 0x1000, v156
	v_addc_co_u32_e32 v31, vcc, 0, v157, vcc
	v_mov_b32_e32 v0, s17
	v_add_co_u32_e32 v42, vcc, s16, v34
	v_addc_co_u32_e32 v43, vcc, v35, v0, vcc
	global_load_dwordx4 v[26:29], v[34:35], off
	s_movk_i32 s12, 0x6000
	global_load_dwordx4 v[30:33], v[30:31], off offset:3296
	s_nop 0
	global_load_dwordx4 v[34:37], v[42:43], off
	global_load_dwordx4 v[38:41], v[24:25], off offset:3728
	v_add_co_u32_e32 v24, vcc, s16, v42
	v_addc_co_u32_e32 v25, vcc, v43, v0, vcc
	v_add_co_u32_e32 v50, vcc, s12, v156
	v_addc_co_u32_e32 v51, vcc, 0, v157, vcc
	global_load_dwordx4 v[42:45], v[50:51], off offset:64
	global_load_dwordx4 v[46:49], v[24:25], off
	s_waitcnt vmcnt(4)
	v_mul_f64 v[24:25], v[28:29], v[32:33]
	v_mul_f64 v[32:33], v[26:27], v[32:33]
	s_waitcnt vmcnt(2)
	v_mul_f64 v[50:51], v[36:37], v[40:41]
	v_mul_f64 v[40:41], v[34:35], v[40:41]
	v_fma_f64 v[24:25], v[26:27], v[30:31], v[24:25]
	v_fma_f64 v[26:27], v[28:29], v[30:31], -v[32:33]
	s_waitcnt vmcnt(0)
	v_mul_f64 v[52:53], v[48:49], v[44:45]
	v_mul_f64 v[44:45], v[46:47], v[44:45]
	v_fma_f64 v[28:29], v[34:35], v[38:39], v[50:51]
	v_fma_f64 v[30:31], v[36:37], v[38:39], -v[40:41]
	v_fma_f64 v[32:33], v[46:47], v[42:43], v[52:53]
	v_fma_f64 v[34:35], v[48:49], v[42:43], -v[44:45]
	ds_write_b128 v255, v[24:27] offset:7392
	ds_write_b128 v255, v[28:31] offset:16016
	;; [unrolled: 1-line block ×3, first 2 shown]
.LBB0_3:
	s_or_b64 exec, exec, s[14:15]
	s_waitcnt vmcnt(0) lgkmcnt(0)
	s_barrier
	ds_read_b128 v[52:55], v255
	ds_read_b128 v[40:43], v255 offset:3696
	ds_read_b128 v[56:59], v255 offset:8624
	ds_read_b128 v[44:47], v255 offset:12320
	ds_read_b128 v[48:51], v255 offset:17248
	ds_read_b128 v[36:39], v255 offset:20944
	s_load_dwordx2 s[14:15], s[4:5], 0x8
                                        ; implicit-def: $vgpr24_vgpr25
                                        ; implicit-def: $vgpr28_vgpr29
                                        ; implicit-def: $vgpr32_vgpr33
	s_and_saveexec_b64 s[4:5], s[0:1]
	s_cbranch_execz .LBB0_5
; %bb.4:
	ds_read_b128 v[24:27], v255 offset:7392
	ds_read_b128 v[28:31], v255 offset:16016
	;; [unrolled: 1-line block ×3, first 2 shown]
.LBB0_5:
	s_or_b64 exec, exec, s[4:5]
	s_waitcnt lgkmcnt(0)
	v_add_f64 v[60:61], v[56:57], v[48:49]
	v_add_f64 v[62:63], v[52:53], v[56:57]
	v_add_f64 v[66:67], v[58:59], v[50:51]
	v_add_f64 v[64:65], v[58:59], -v[50:51]
	v_add_f64 v[58:59], v[54:55], v[58:59]
	v_add_f64 v[68:69], v[56:57], -v[48:49]
	s_mov_b32 s4, 0xe8584caa
	s_mov_b32 s5, 0x3febb67a
	v_fma_f64 v[60:61], v[60:61], -0.5, v[52:53]
	v_add_f64 v[48:49], v[62:63], v[48:49]
	v_fma_f64 v[66:67], v[66:67], -0.5, v[54:55]
	v_add_f64 v[62:63], v[40:41], v[44:45]
	s_mov_b32 s17, 0xbfebb67a
	s_mov_b32 s16, s4
	v_add_f64 v[50:51], v[58:59], v[50:51]
	v_add_f64 v[70:71], v[46:47], v[38:39]
	v_fma_f64 v[52:53], v[64:65], s[4:5], v[60:61]
	v_fma_f64 v[56:57], v[64:65], s[16:17], v[60:61]
	v_add_f64 v[64:65], v[44:45], v[36:37]
	v_fma_f64 v[54:55], v[68:69], s[16:17], v[66:67]
	v_fma_f64 v[58:59], v[68:69], s[4:5], v[66:67]
	v_add_f64 v[66:67], v[28:29], v[32:33]
	v_add_f64 v[60:61], v[62:63], v[36:37]
	;; [unrolled: 1-line block ×3, first 2 shown]
	v_add_f64 v[68:69], v[30:31], -v[34:35]
	v_add_f64 v[72:73], v[28:29], -v[32:33]
	v_fma_f64 v[40:41], v[64:65], -0.5, v[40:41]
	v_add_f64 v[64:65], v[46:47], -v[38:39]
	v_add_f64 v[46:47], v[42:43], v[46:47]
	v_fma_f64 v[42:43], v[70:71], -0.5, v[42:43]
	v_fma_f64 v[66:67], v[66:67], -0.5, v[24:25]
	;; [unrolled: 1-line block ×3, first 2 shown]
	v_add_f64 v[44:45], v[44:45], -v[36:37]
	v_add_u32_e32 v0, 0xe7, v158
	s_movk_i32 s12, 0x1ce
	v_fma_f64 v[36:37], v[64:65], s[4:5], v[40:41]
	v_add_f64 v[62:63], v[46:47], v[38:39]
	v_fma_f64 v[40:41], v[64:65], s[16:17], v[40:41]
	v_fma_f64 v[100:101], v[68:69], s[4:5], v[66:67]
	;; [unrolled: 1-line block ×7, first 2 shown]
	v_add_co_u32_e32 v1, vcc, s12, v158
	v_mul_lo_u16_e32 v2, 3, v158
	v_mul_u32_u24_e32 v0, 3, v0
	v_lshlrev_b32_e32 v208, 4, v2
	v_lshlrev_b32_e32 v209, 4, v0
	v_mul_u32_u24_e32 v0, 3, v1
	s_barrier
	ds_write_b128 v208, v[48:51]
	ds_write_b128 v208, v[52:55] offset:16
	ds_write_b128 v208, v[56:59] offset:32
	ds_write_b128 v209, v[60:63]
	ds_write_b128 v209, v[36:39] offset:16
	ds_write_b128 v209, v[40:43] offset:32
	buffer_store_dword v0, off, s[44:47], 0 offset:48 ; 4-byte Folded Spill
	s_and_saveexec_b64 s[4:5], s[0:1]
	s_cbranch_execz .LBB0_7
; %bb.6:
	buffer_load_dword v0, off, s[44:47], 0 offset:48 ; 4-byte Folded Reload
	v_add_f64 v[26:27], v[26:27], v[30:31]
	v_add_f64 v[24:25], v[24:25], v[28:29]
	;; [unrolled: 1-line block ×4, first 2 shown]
	s_waitcnt vmcnt(0)
	v_lshlrev_b32_e32 v0, 4, v0
	ds_write_b128 v0, v[100:103] offset:16
	ds_write_b128 v0, v[24:27]
	ds_write_b128 v0, v[108:111] offset:32
.LBB0_7:
	s_or_b64 exec, exec, s[4:5]
	s_movk_i32 s4, 0xab
	v_mul_lo_u16_sdwa v0, v158, s4 dst_sel:DWORD dst_unused:UNUSED_PAD src0_sel:BYTE_0 src1_sel:DWORD
	v_lshrrev_b16_e32 v0, 9, v0
	v_mul_lo_u16_e32 v1, 3, v0
	v_sub_u16_e32 v1, v158, v1
	v_and_b32_e32 v1, 0xff, v1
	v_mul_u32_u24_e32 v2, 6, v1
	v_lshlrev_b32_e32 v2, 4, v2
	s_waitcnt vmcnt(0) lgkmcnt(0)
	s_barrier
	global_load_dwordx4 v[36:39], v2, s[14:15]
	global_load_dwordx4 v[32:35], v2, s[14:15] offset:16
	global_load_dwordx4 v[28:31], v2, s[14:15] offset:32
	;; [unrolled: 1-line block ×5, first 2 shown]
	ds_read_b128 v[48:51], v255
	ds_read_b128 v[52:55], v255 offset:3696
	ds_read_b128 v[56:59], v255 offset:7392
	;; [unrolled: 1-line block ×6, first 2 shown]
	s_mov_b32 s16, 0x37e14327
	s_mov_b32 s4, 0x36b3c0b5
	;; [unrolled: 1-line block ×20, first 2 shown]
	s_movk_i32 s12, 0x87
	v_mul_u32_u24_e32 v0, 21, v0
	v_add_lshl_u32 v204, v0, v1, 4
	v_mul_lo_u16_sdwa v0, v158, s12 dst_sel:DWORD dst_unused:UNUSED_PAD src0_sel:BYTE_0 src1_sel:DWORD
	v_sub_u16_sdwa v1, v158, v0 dst_sel:DWORD dst_unused:UNUSED_PAD src0_sel:DWORD src1_sel:BYTE_1
	v_lshrrev_b16_e32 v1, 1, v1
	v_and_b32_e32 v1, 0x7f, v1
	v_add_u16_sdwa v0, v1, v0 dst_sel:DWORD dst_unused:UNUSED_PAD src0_sel:DWORD src1_sel:BYTE_1
	v_lshrrev_b16_e32 v0, 4, v0
	v_and_b32_e32 v0, 15, v0
	v_mul_lo_u16_e32 v1, 21, v0
	s_waitcnt vmcnt(0) lgkmcnt(0)
	s_barrier
	v_sub_u16_e32 v1, v158, v1
	v_and_b32_e32 v1, 0xff, v1
	s_movk_i32 s12, 0x60
	v_mul_f64 v[76:77], v[54:55], v[38:39]
	v_mul_f64 v[78:79], v[52:53], v[38:39]
	;; [unrolled: 1-line block ×12, first 2 shown]
	v_fma_f64 v[52:53], v[52:53], v[36:37], -v[76:77]
	v_fma_f64 v[54:55], v[54:55], v[36:37], v[78:79]
	v_fma_f64 v[56:57], v[56:57], v[32:33], -v[80:81]
	v_fma_f64 v[58:59], v[58:59], v[32:33], v[82:83]
	;; [unrolled: 2-line block ×6, first 2 shown]
	v_add_f64 v[76:77], v[52:53], v[72:73]
	v_add_f64 v[78:79], v[54:55], v[74:75]
	v_add_f64 v[52:53], v[52:53], -v[72:73]
	v_add_f64 v[54:55], v[54:55], -v[74:75]
	v_add_f64 v[72:73], v[56:57], v[68:69]
	v_add_f64 v[74:75], v[58:59], v[70:71]
	v_add_f64 v[56:57], v[56:57], -v[68:69]
	v_add_f64 v[58:59], v[58:59], -v[70:71]
	;; [unrolled: 4-line block ×4, first 2 shown]
	v_add_f64 v[76:77], v[76:77], -v[68:69]
	v_add_f64 v[78:79], v[78:79], -v[70:71]
	;; [unrolled: 1-line block ×4, first 2 shown]
	v_add_f64 v[84:85], v[60:61], v[56:57]
	v_add_f64 v[86:87], v[62:63], v[58:59]
	v_add_f64 v[88:89], v[60:61], -v[56:57]
	v_add_f64 v[90:91], v[62:63], -v[58:59]
	v_add_f64 v[64:65], v[68:69], v[64:65]
	v_add_f64 v[66:67], v[70:71], v[66:67]
	v_add_f64 v[56:57], v[56:57], -v[52:53]
	v_add_f64 v[58:59], v[58:59], -v[54:55]
	;; [unrolled: 1-line block ×4, first 2 shown]
	v_add_f64 v[52:53], v[84:85], v[52:53]
	v_add_f64 v[54:55], v[86:87], v[54:55]
	v_mul_f64 v[68:69], v[76:77], s[16:17]
	v_mul_f64 v[70:71], v[78:79], s[16:17]
	;; [unrolled: 1-line block ×6, first 2 shown]
	v_add_f64 v[48:49], v[48:49], v[64:65]
	v_add_f64 v[50:51], v[50:51], v[66:67]
	v_mul_f64 v[88:89], v[56:57], s[18:19]
	v_mul_f64 v[90:91], v[58:59], s[18:19]
	v_fma_f64 v[72:73], v[72:73], s[4:5], v[68:69]
	v_fma_f64 v[74:75], v[74:75], s[4:5], v[70:71]
	v_fma_f64 v[76:77], v[80:81], s[24:25], -v[76:77]
	v_fma_f64 v[78:79], v[82:83], s[24:25], -v[78:79]
	;; [unrolled: 1-line block ×4, first 2 shown]
	v_fma_f64 v[80:81], v[60:61], s[28:29], v[84:85]
	v_fma_f64 v[82:83], v[62:63], s[28:29], v[86:87]
	;; [unrolled: 1-line block ×4, first 2 shown]
	v_fma_f64 v[60:61], v[60:61], s[30:31], -v[88:89]
	v_fma_f64 v[62:63], v[62:63], s[30:31], -v[90:91]
	;; [unrolled: 1-line block ×4, first 2 shown]
	v_fma_f64 v[80:81], v[52:53], s[34:35], v[80:81]
	v_fma_f64 v[82:83], v[54:55], s[34:35], v[82:83]
	v_add_f64 v[72:73], v[72:73], v[64:65]
	v_add_f64 v[74:75], v[74:75], v[66:67]
	v_fma_f64 v[88:89], v[52:53], s[34:35], v[60:61]
	v_fma_f64 v[90:91], v[54:55], s[34:35], v[62:63]
	v_add_f64 v[68:69], v[68:69], v[64:65]
	v_add_f64 v[70:71], v[70:71], v[66:67]
	;; [unrolled: 4-line block ×3, first 2 shown]
	v_add_f64 v[52:53], v[82:83], v[72:73]
	v_add_f64 v[54:55], v[74:75], -v[80:81]
	v_add_f64 v[56:57], v[90:91], v[68:69]
	v_add_f64 v[58:59], v[70:71], -v[88:89]
	v_add_f64 v[68:69], v[68:69], -v[90:91]
	v_add_f64 v[70:71], v[88:89], v[70:71]
	v_add_f64 v[60:61], v[64:65], -v[86:87]
	v_add_f64 v[62:63], v[84:85], v[66:67]
	v_add_f64 v[64:65], v[86:87], v[64:65]
	v_add_f64 v[66:67], v[66:67], -v[84:85]
	v_add_f64 v[72:73], v[72:73], -v[82:83]
	v_add_f64 v[74:75], v[80:81], v[74:75]
	ds_write_b128 v204, v[48:51]
	ds_write_b128 v204, v[52:55] offset:48
	ds_write_b128 v204, v[56:59] offset:96
	ds_write_b128 v204, v[60:63] offset:144
	ds_write_b128 v204, v[64:67] offset:192
	ds_write_b128 v204, v[68:71] offset:240
	ds_write_b128 v204, v[72:75] offset:288
	v_mov_b32_e32 v49, s15
	v_mov_b32_e32 v48, s14
	v_mad_u64_u32 v[72:73], s[36:37], v1, s12, v[48:49]
	s_waitcnt lgkmcnt(0)
	s_barrier
	global_load_dwordx4 v[60:63], v[72:73], off offset:288
	global_load_dwordx4 v[56:59], v[72:73], off offset:304
	global_load_dwordx4 v[52:55], v[72:73], off offset:320
	global_load_dwordx4 v[48:51], v[72:73], off offset:336
	global_load_dwordx4 v[64:67], v[72:73], off offset:368
	global_load_dwordx4 v[68:71], v[72:73], off offset:352
	ds_read_b128 v[72:75], v255
	ds_read_b128 v[76:79], v255 offset:3696
	ds_read_b128 v[80:83], v255 offset:7392
	;; [unrolled: 1-line block ×6, first 2 shown]
	s_movk_i32 s12, 0x93
	v_mul_u32_u24_sdwa v0, v0, s12 dst_sel:DWORD dst_unused:UNUSED_PAD src0_sel:WORD_0 src1_sel:DWORD
	v_add_lshl_u32 v210, v0, v1, 4
	s_waitcnt vmcnt(0) lgkmcnt(0)
	s_barrier
	v_mul_f64 v[104:105], v[78:79], v[62:63]
	v_mul_f64 v[106:107], v[76:77], v[62:63]
	;; [unrolled: 1-line block ×12, first 2 shown]
	v_fma_f64 v[76:77], v[76:77], v[60:61], -v[104:105]
	v_fma_f64 v[78:79], v[78:79], v[60:61], v[106:107]
	v_fma_f64 v[80:81], v[80:81], v[56:57], -v[112:113]
	v_fma_f64 v[82:83], v[82:83], v[56:57], v[114:115]
	;; [unrolled: 2-line block ×6, first 2 shown]
	v_add_f64 v[104:105], v[76:77], v[96:97]
	v_add_f64 v[106:107], v[78:79], v[98:99]
	v_add_f64 v[76:77], v[76:77], -v[96:97]
	v_add_f64 v[78:79], v[78:79], -v[98:99]
	v_add_f64 v[96:97], v[80:81], v[92:93]
	v_add_f64 v[98:99], v[82:83], v[94:95]
	v_add_f64 v[80:81], v[80:81], -v[92:93]
	v_add_f64 v[82:83], v[82:83], -v[94:95]
	;; [unrolled: 4-line block ×4, first 2 shown]
	v_add_f64 v[104:105], v[104:105], -v[92:93]
	v_add_f64 v[106:107], v[106:107], -v[94:95]
	;; [unrolled: 1-line block ×4, first 2 shown]
	v_add_f64 v[116:117], v[84:85], v[80:81]
	v_add_f64 v[118:119], v[86:87], v[82:83]
	v_add_f64 v[120:121], v[84:85], -v[80:81]
	v_add_f64 v[122:123], v[86:87], -v[82:83]
	;; [unrolled: 1-line block ×4, first 2 shown]
	v_add_f64 v[88:89], v[92:93], v[88:89]
	v_add_f64 v[90:91], v[94:95], v[90:91]
	v_add_f64 v[84:85], v[76:77], -v[84:85]
	v_add_f64 v[86:87], v[78:79], -v[86:87]
	v_add_f64 v[76:77], v[116:117], v[76:77]
	v_add_f64 v[78:79], v[118:119], v[78:79]
	v_mul_f64 v[92:93], v[104:105], s[16:17]
	v_mul_f64 v[94:95], v[106:107], s[16:17]
	;; [unrolled: 1-line block ×8, first 2 shown]
	v_add_f64 v[120:121], v[72:73], v[88:89]
	v_add_f64 v[122:123], v[74:75], v[90:91]
	v_fma_f64 v[72:73], v[96:97], s[4:5], v[92:93]
	v_fma_f64 v[74:75], v[98:99], s[4:5], v[94:95]
	v_fma_f64 v[96:97], v[112:113], s[24:25], -v[104:105]
	v_fma_f64 v[98:99], v[114:115], s[24:25], -v[106:107]
	;; [unrolled: 1-line block ×4, first 2 shown]
	v_fma_f64 v[104:105], v[84:85], s[28:29], v[116:117]
	v_fma_f64 v[106:107], v[86:87], s[28:29], v[118:119]
	v_fma_f64 v[80:81], v[80:81], s[18:19], -v[116:117]
	v_fma_f64 v[82:83], v[82:83], s[18:19], -v[118:119]
	;; [unrolled: 1-line block ×4, first 2 shown]
	v_fma_f64 v[88:89], v[88:89], s[20:21], v[120:121]
	v_fma_f64 v[90:91], v[90:91], s[20:21], v[122:123]
	;; [unrolled: 1-line block ×8, first 2 shown]
	v_add_f64 v[72:73], v[72:73], v[88:89]
	v_add_f64 v[74:75], v[74:75], v[90:91]
	;; [unrolled: 1-line block ×6, first 2 shown]
	v_cmp_gt_u16_e64 s[4:5], s12, v158
                                        ; implicit-def: $vgpr128_vgpr129
	v_add_f64 v[88:89], v[118:119], v[72:73]
	v_add_f64 v[90:91], v[74:75], -v[116:117]
	v_add_f64 v[92:93], v[78:79], v[84:85]
	v_add_f64 v[94:95], v[86:87], -v[76:77]
	v_add_f64 v[96:97], v[104:105], -v[82:83]
	v_add_f64 v[98:99], v[80:81], v[106:107]
	v_add_f64 v[104:105], v[82:83], v[104:105]
	v_add_f64 v[106:107], v[106:107], -v[80:81]
	v_add_f64 v[112:113], v[84:85], -v[78:79]
	v_add_f64 v[114:115], v[76:77], v[86:87]
	v_add_f64 v[124:125], v[72:73], -v[118:119]
	v_add_f64 v[126:127], v[116:117], v[74:75]
	ds_write_b128 v210, v[120:123]
	ds_write_b128 v210, v[88:91] offset:336
	ds_write_b128 v210, v[92:95] offset:672
	;; [unrolled: 1-line block ×6, first 2 shown]
	s_waitcnt lgkmcnt(0)
	s_barrier
	s_waitcnt lgkmcnt(0)
                                        ; implicit-def: $vgpr116_vgpr117
	s_and_saveexec_b64 s[16:17], s[4:5]
	s_cbranch_execz .LBB0_9
; %bb.8:
	ds_read_b128 v[120:123], v255
	ds_read_b128 v[88:91], v255 offset:2352
	ds_read_b128 v[92:95], v255 offset:4704
	;; [unrolled: 1-line block ×10, first 2 shown]
.LBB0_9:
	s_or_b64 exec, exec, s[16:17]
	v_add_u32_e32 v0, 0xffffff6d, v158
	v_cndmask_b32_e64 v0, v0, v158, s[4:5]
	v_mul_hi_i32_i24_e32 v1, 0xa0, v0
	v_mul_i32_i24_e32 v0, 0xa0, v0
	v_add_co_u32_e32 v132, vcc, s14, v0
	v_mov_b32_e32 v0, s15
	v_addc_co_u32_e32 v133, vcc, v0, v1, vcc
	global_load_dwordx4 v[82:85], v[132:133], off offset:2352
	global_load_dwordx4 v[76:79], v[132:133], off offset:2336
	;; [unrolled: 1-line block ×4, first 2 shown]
	s_mov_b32 s26, 0x43842ef
	s_mov_b32 s27, 0xbfefac9e
	s_mov_b32 s18, 0x640f44db
	s_mov_b32 s28, 0xbb3a28a1
	s_mov_b32 s19, 0xbfc2375f
	s_mov_b32 s29, 0xbfe82f19
	s_mov_b32 s20, 0x7f775887
	s_mov_b32 s34, 0xfd768dbf
	s_mov_b32 s21, 0xbfe4f49e
	s_mov_b32 s35, 0xbfd207e7
	s_mov_b32 s30, 0xf8bb580b
	s_mov_b32 s22, 0x9bcd5057
	s_mov_b32 s31, 0xbfe14ced
	s_mov_b32 s25, 0xbfed1bb4
	s_mov_b32 s24, 0x8eee2c13
	s_mov_b32 s23, 0xbfeeb42a
	s_mov_b32 s14, 0xd9c712b6
	s_mov_b32 s15, 0x3fda9628
	s_mov_b32 s16, 0x8764f0ba
	s_mov_b32 s17, 0x3feaeb8c
	s_mov_b32 s39, 0x3fd207e7
	s_mov_b32 s38, s34
	s_mov_b32 s41, 0x3fefac9e
	s_mov_b32 s40, s26
	s_mov_b32 s37, 0x3fe14ced
	s_mov_b32 s36, s30
	s_waitcnt vmcnt(0) lgkmcnt(9)
	v_mul_f64 v[134:135], v[90:91], v[241:242]
	v_fma_f64 v[12:13], v[88:89], v[239:240], -v[134:135]
	v_mul_f64 v[88:89], v[88:89], v[241:242]
	v_fma_f64 v[14:15], v[90:91], v[239:240], v[88:89]
	s_waitcnt lgkmcnt(8)
	v_mul_f64 v[88:89], v[94:95], v[74:75]
	v_fma_f64 v[8:9], v[92:93], v[72:73], -v[88:89]
	v_mul_f64 v[88:89], v[92:93], v[74:75]
	v_fma_f64 v[10:11], v[94:95], v[72:73], v[88:89]
	s_waitcnt lgkmcnt(7)
	;; [unrolled: 5-line block ×3, first 2 shown]
	v_mul_f64 v[88:89], v[106:107], v[84:85]
	v_fma_f64 v[0:1], v[104:105], v[82:83], -v[88:89]
	v_mul_f64 v[88:89], v[104:105], v[84:85]
	v_fma_f64 v[2:3], v[106:107], v[82:83], v[88:89]
	global_load_dwordx4 v[86:89], v[132:133], off offset:2416
	global_load_dwordx4 v[90:93], v[132:133], off offset:2400
	;; [unrolled: 1-line block ×4, first 2 shown]
	s_waitcnt vmcnt(0) lgkmcnt(5)
	v_mul_f64 v[134:135], v[114:115], v[106:107]
	v_fma_f64 v[171:172], v[112:113], v[104:105], -v[134:135]
	v_mul_f64 v[112:113], v[112:113], v[106:107]
	v_fma_f64 v[173:174], v[114:115], v[104:105], v[112:113]
	s_waitcnt lgkmcnt(4)
	v_mul_f64 v[112:113], v[126:127], v[96:97]
	v_fma_f64 v[167:168], v[124:125], v[94:95], -v[112:113]
	v_mul_f64 v[112:113], v[124:125], v[96:97]
	v_add_f64 v[154:155], v[171:172], -v[167:168]
	v_fma_f64 v[169:170], v[126:127], v[94:95], v[112:113]
	s_waitcnt lgkmcnt(3)
	v_mul_f64 v[112:113], v[102:103], v[92:93]
	v_mul_f64 v[185:186], v[154:155], s[34:35]
	v_add_f64 v[152:153], v[173:174], -v[169:170]
	v_fma_f64 v[20:21], v[100:101], v[90:91], -v[112:113]
	v_mul_f64 v[100:101], v[100:101], v[92:93]
	v_add_f64 v[144:145], v[173:174], v[169:170]
	v_mul_f64 v[148:149], v[154:155], s[28:29]
	v_mul_f64 v[183:184], v[152:153], s[34:35]
	v_add_f64 v[187:188], v[0:1], v[20:21]
	v_fma_f64 v[165:166], v[102:103], v[90:91], v[100:101]
	s_waitcnt lgkmcnt(2)
	v_mul_f64 v[100:101], v[110:111], v[88:89]
	v_mul_f64 v[191:192], v[152:153], s[36:37]
	;; [unrolled: 1-line block ×3, first 2 shown]
	v_add_f64 v[189:190], v[2:3], v[165:166]
	v_fma_f64 v[16:17], v[108:109], v[86:87], -v[100:101]
	v_mul_f64 v[100:101], v[108:109], v[88:89]
	v_add_f64 v[243:244], v[4:5], v[16:17]
	v_fma_f64 v[18:19], v[110:111], v[86:87], v[100:101]
	global_load_dwordx4 v[100:103], v[132:133], off offset:2448
	global_load_dwordx4 v[108:111], v[132:133], off offset:2432
	v_add_f64 v[245:246], v[6:7], v[18:19]
	s_waitcnt vmcnt(0) lgkmcnt(1)
	v_mul_f64 v[112:113], v[118:119], v[110:111]
	v_fma_f64 v[231:232], v[116:117], v[108:109], -v[112:113]
	v_mul_f64 v[112:113], v[116:117], v[110:111]
	v_add_f64 v[136:137], v[8:9], -v[231:232]
	v_fma_f64 v[98:99], v[118:119], v[108:109], v[112:113]
	s_waitcnt lgkmcnt(0)
	v_mul_f64 v[112:113], v[130:131], v[102:103]
	v_add_f64 v[211:212], v[8:9], v[231:232]
	v_mul_f64 v[142:143], v[136:137], s[24:25]
	v_add_f64 v[138:139], v[10:11], -v[98:99]
	v_fma_f64 v[175:176], v[128:129], v[100:101], -v[112:113]
	v_mul_f64 v[112:113], v[128:129], v[102:103]
	v_add_f64 v[213:214], v[10:11], v[98:99]
	v_mul_f64 v[229:230], v[136:137], s[40:41]
	v_mul_f64 v[237:238], v[136:137], s[36:37]
	;; [unrolled: 1-line block ×3, first 2 shown]
	v_add_f64 v[197:198], v[12:13], v[175:176]
	v_fma_f64 v[227:228], v[130:131], v[100:101], v[112:113]
	v_add_f64 v[112:113], v[12:13], -v[175:176]
	v_add_f64 v[199:200], v[14:15], v[227:228]
	v_mul_f64 v[22:23], v[112:113], s[26:27]
	buffer_store_dword v22, off, s[44:47], 0 offset:84 ; 4-byte Folded Spill
	s_nop 0
	buffer_store_dword v23, off, s[44:47], 0 offset:88 ; 4-byte Folded Spill
	v_add_f64 v[114:115], v[14:15], -v[227:228]
	v_mul_f64 v[134:135], v[112:113], s[28:29]
	v_mul_f64 v[159:160], v[112:113], s[30:31]
	;; [unrolled: 1-line block ×6, first 2 shown]
	v_fma_f64 v[118:119], v[199:200], s[16:17], -v[159:160]
	v_fma_f64 v[126:127], v[199:200], s[14:15], -v[247:248]
	v_fma_f64 v[116:117], v[197:198], s[16:17], v[80:81]
	v_fma_f64 v[124:125], v[197:198], s[14:15], v[206:207]
	;; [unrolled: 1-line block ×3, first 2 shown]
	v_add_f64 v[118:119], v[122:123], v[118:119]
	v_add_f64 v[126:127], v[122:123], v[126:127]
	;; [unrolled: 1-line block ×5, first 2 shown]
	v_fma_f64 v[130:131], v[199:200], s[18:19], -v[22:23]
	v_mul_f64 v[22:23], v[114:115], s[28:29]
	buffer_store_dword v22, off, s[44:47], 0 offset:92 ; 4-byte Folded Spill
	s_nop 0
	buffer_store_dword v23, off, s[44:47], 0 offset:96 ; 4-byte Folded Spill
	buffer_store_dword v134, off, s[44:47], 0 offset:100 ; 4-byte Folded Spill
	s_nop 0
	buffer_store_dword v135, off, s[44:47], 0 offset:104 ; 4-byte Folded Spill
	v_add_f64 v[130:131], v[122:123], v[130:131]
	v_fma_f64 v[132:133], v[197:198], s[20:21], v[22:23]
	v_mul_f64 v[22:23], v[114:115], s[34:35]
	buffer_store_dword v22, off, s[44:47], 0 offset:108 ; 4-byte Folded Spill
	s_nop 0
	buffer_store_dword v23, off, s[44:47], 0 offset:112 ; 4-byte Folded Spill
	v_mul_f64 v[114:115], v[112:113], s[34:35]
	buffer_store_dword v114, off, s[44:47], 0 offset:124 ; 4-byte Folded Spill
	s_nop 0
	buffer_store_dword v115, off, s[44:47], 0 offset:128 ; 4-byte Folded Spill
	v_add_f64 v[132:133], v[120:121], v[132:133]
	v_fma_f64 v[134:135], v[199:200], s[20:21], -v[134:135]
	v_add_f64 v[134:135], v[122:123], v[134:135]
	v_fma_f64 v[112:113], v[197:198], s[22:23], v[22:23]
	v_mul_f64 v[22:23], v[138:139], s[24:25]
	buffer_store_dword v22, off, s[44:47], 0 offset:52 ; 4-byte Folded Spill
	s_nop 0
	buffer_store_dword v23, off, s[44:47], 0 offset:56 ; 4-byte Folded Spill
	buffer_store_dword v142, off, s[44:47], 0 offset:60 ; 4-byte Folded Spill
	s_nop 0
	buffer_store_dword v143, off, s[44:47], 0 offset:64 ; 4-byte Folded Spill
	v_add_f64 v[112:113], v[120:121], v[112:113]
	v_fma_f64 v[114:115], v[199:200], s[22:23], -v[114:115]
	s_mov_b32 s25, 0x3fed1bb4
	v_mul_f64 v[150:151], v[152:153], s[24:25]
	v_mul_f64 v[201:202], v[154:155], s[24:25]
	;; [unrolled: 1-line block ×3, first 2 shown]
	v_add_f64 v[114:115], v[122:123], v[114:115]
	v_fma_f64 v[140:141], v[211:212], s[14:15], v[22:23]
	v_mul_f64 v[22:23], v[138:139], s[28:29]
	buffer_store_dword v22, off, s[44:47], 0 offset:68 ; 4-byte Folded Spill
	s_nop 0
	buffer_store_dword v23, off, s[44:47], 0 offset:72 ; 4-byte Folded Spill
	v_add_f64 v[116:117], v[140:141], v[116:117]
	v_fma_f64 v[140:141], v[213:214], s[14:15], -v[142:143]
	v_mul_f64 v[142:143], v[136:137], s[28:29]
	buffer_store_dword v142, off, s[44:47], 0 offset:76 ; 4-byte Folded Spill
	s_nop 0
	buffer_store_dword v143, off, s[44:47], 0 offset:80 ; 4-byte Folded Spill
	v_add_f64 v[118:119], v[140:141], v[118:119]
	v_fma_f64 v[140:141], v[211:212], s[20:21], v[22:23]
	v_mul_f64 v[22:23], v[138:139], s[38:39]
	buffer_store_dword v22, off, s[44:47], 0 offset:116 ; 4-byte Folded Spill
	s_nop 0
	buffer_store_dword v23, off, s[44:47], 0 offset:120 ; 4-byte Folded Spill
	v_add_f64 v[124:125], v[140:141], v[124:125]
	v_fma_f64 v[140:141], v[213:214], s[20:21], -v[142:143]
	v_mul_f64 v[142:143], v[136:137], s[38:39]
	buffer_store_dword v142, off, s[44:47], 0 offset:132 ; 4-byte Folded Spill
	s_nop 0
	buffer_store_dword v143, off, s[44:47], 0 offset:136 ; 4-byte Folded Spill
	v_add_f64 v[126:127], v[140:141], v[126:127]
	v_fma_f64 v[136:137], v[211:212], s[16:17], v[233:234]
	v_add_f64 v[112:113], v[136:137], v[112:113]
	v_fma_f64 v[136:137], v[213:214], s[16:17], -v[237:238]
	v_add_f64 v[114:115], v[136:137], v[114:115]
	v_add_f64 v[136:137], v[4:5], -v[16:17]
	v_mul_f64 v[177:178], v[136:137], s[30:31]
	v_mul_f64 v[181:182], v[136:137], s[28:29]
	v_fma_f64 v[140:141], v[211:212], s[22:23], v[22:23]
	v_mul_f64 v[22:23], v[138:139], s[40:41]
	buffer_store_dword v22, off, s[44:47], 0 offset:164 ; 4-byte Folded Spill
	s_nop 0
	buffer_store_dword v23, off, s[44:47], 0 offset:168 ; 4-byte Folded Spill
	v_add_f64 v[128:129], v[140:141], v[128:129]
	v_fma_f64 v[140:141], v[213:214], s[22:23], -v[142:143]
	v_add_f64 v[138:139], v[6:7], -v[18:19]
	v_mul_f64 v[142:143], v[136:137], s[26:27]
	v_add_f64 v[130:131], v[140:141], v[130:131]
	v_mul_f64 v[249:250], v[138:139], s[30:31]
	v_mul_f64 v[251:252], v[138:139], s[28:29]
	v_fma_f64 v[140:141], v[211:212], s[18:19], v[22:23]
	v_mul_f64 v[22:23], v[138:139], s[26:27]
	buffer_store_dword v22, off, s[44:47], 0 offset:140 ; 4-byte Folded Spill
	s_nop 0
	buffer_store_dword v23, off, s[44:47], 0 offset:144 ; 4-byte Folded Spill
	buffer_store_dword v142, off, s[44:47], 0 offset:148 ; 4-byte Folded Spill
	s_nop 0
	buffer_store_dword v143, off, s[44:47], 0 offset:152 ; 4-byte Folded Spill
	v_add_f64 v[132:133], v[140:141], v[132:133]
	v_fma_f64 v[140:141], v[213:214], s[18:19], -v[229:230]
	v_add_f64 v[134:135], v[140:141], v[134:135]
	v_fma_f64 v[140:141], v[243:244], s[18:19], v[22:23]
	v_mul_f64 v[22:23], v[138:139], s[38:39]
	buffer_store_dword v22, off, s[44:47], 0 offset:156 ; 4-byte Folded Spill
	s_nop 0
	buffer_store_dword v23, off, s[44:47], 0 offset:160 ; 4-byte Folded Spill
	v_add_f64 v[116:117], v[140:141], v[116:117]
	v_fma_f64 v[140:141], v[245:246], s[18:19], -v[142:143]
	v_mul_f64 v[142:143], v[136:137], s[38:39]
	buffer_store_dword v142, off, s[44:47], 0 offset:172 ; 4-byte Folded Spill
	s_nop 0
	buffer_store_dword v143, off, s[44:47], 0 offset:176 ; 4-byte Folded Spill
	v_add_f64 v[118:119], v[140:141], v[118:119]
	v_fma_f64 v[140:141], v[243:244], s[22:23], v[22:23]
	v_mul_f64 v[22:23], v[138:139], s[24:25]
	buffer_store_dword v22, off, s[44:47], 0 offset:180 ; 4-byte Folded Spill
	s_nop 0
	buffer_store_dword v23, off, s[44:47], 0 offset:184 ; 4-byte Folded Spill
	v_add_f64 v[124:125], v[140:141], v[124:125]
	v_fma_f64 v[140:141], v[245:246], s[22:23], -v[142:143]
	v_mul_f64 v[142:143], v[136:137], s[24:25]
	buffer_store_dword v142, off, s[44:47], 0 offset:188 ; 4-byte Folded Spill
	s_nop 0
	buffer_store_dword v143, off, s[44:47], 0 offset:192 ; 4-byte Folded Spill
	v_add_f64 v[126:127], v[140:141], v[126:127]
	v_fma_f64 v[136:137], v[243:244], s[20:21], v[251:252]
	v_add_f64 v[112:113], v[136:137], v[112:113]
	v_fma_f64 v[136:137], v[245:246], s[20:21], -v[181:182]
	v_add_f64 v[114:115], v[136:137], v[114:115]
	v_add_f64 v[136:137], v[0:1], -v[20:21]
	v_mul_f64 v[179:180], v[136:137], s[30:31]
	v_fma_f64 v[140:141], v[243:244], s[14:15], v[22:23]
	v_add_f64 v[128:129], v[140:141], v[128:129]
	v_fma_f64 v[140:141], v[245:246], s[14:15], -v[142:143]
	v_mul_f64 v[142:143], v[136:137], s[28:29]
	v_add_f64 v[130:131], v[140:141], v[130:131]
	v_fma_f64 v[140:141], v[243:244], s[16:17], v[249:250]
	v_add_f64 v[132:133], v[140:141], v[132:133]
	v_fma_f64 v[140:141], v[245:246], s[16:17], -v[177:178]
	v_add_f64 v[134:135], v[140:141], v[134:135]
	v_add_f64 v[140:141], v[2:3], -v[165:166]
	v_mul_f64 v[22:23], v[140:141], s[28:29]
	buffer_store_dword v22, off, s[44:47], 0 offset:196 ; 4-byte Folded Spill
	s_nop 0
	buffer_store_dword v23, off, s[44:47], 0 offset:200 ; 4-byte Folded Spill
	buffer_store_dword v142, off, s[44:47], 0 offset:204 ; 4-byte Folded Spill
	s_nop 0
	buffer_store_dword v143, off, s[44:47], 0 offset:208 ; 4-byte Folded Spill
	v_mul_f64 v[253:254], v[140:141], s[30:31]
	v_mul_f64 v[193:194], v[140:141], s[34:35]
	;; [unrolled: 1-line block ×3, first 2 shown]
	v_fma_f64 v[138:139], v[187:188], s[20:21], v[22:23]
	v_mul_f64 v[22:23], v[136:137], s[40:41]
	v_add_f64 v[116:117], v[138:139], v[116:117]
	v_fma_f64 v[138:139], v[189:190], s[20:21], -v[142:143]
	v_fma_f64 v[142:143], v[187:188], s[22:23], v[193:194]
	v_add_f64 v[118:119], v[138:139], v[118:119]
	v_mul_f64 v[138:139], v[140:141], s[40:41]
	buffer_store_dword v138, off, s[44:47], 0 offset:212 ; 4-byte Folded Spill
	s_nop 0
	buffer_store_dword v139, off, s[44:47], 0 offset:216 ; 4-byte Folded Spill
	v_add_f64 v[132:133], v[142:143], v[132:133]
	v_mul_f64 v[140:141], v[154:155], s[36:37]
	v_mul_f64 v[154:155], v[154:155], s[26:27]
	v_fma_f64 v[138:139], v[187:188], s[18:19], v[138:139]
	v_add_f64 v[124:125], v[138:139], v[124:125]
	v_fma_f64 v[138:139], v[189:190], s[18:19], -v[22:23]
	v_add_f64 v[126:127], v[138:139], v[126:127]
	v_fma_f64 v[138:139], v[187:188], s[16:17], v[253:254]
	v_add_f64 v[128:129], v[138:139], v[128:129]
	v_fma_f64 v[138:139], v[189:190], s[16:17], -v[179:180]
	v_add_f64 v[130:131], v[138:139], v[130:131]
	v_mul_f64 v[138:139], v[136:137], s[34:35]
	v_fma_f64 v[142:143], v[189:190], s[22:23], -v[138:139]
	v_add_f64 v[134:135], v[142:143], v[134:135]
	v_mul_f64 v[142:143], v[136:137], s[24:25]
	v_fma_f64 v[136:137], v[187:188], s[14:15], v[195:196]
	v_add_f64 v[161:162], v[136:137], v[112:113]
	v_fma_f64 v[112:113], v[189:190], s[14:15], -v[142:143]
	v_add_f64 v[136:137], v[171:172], v[167:168]
	v_add_f64 v[163:164], v[112:113], v[114:115]
	v_fma_f64 v[112:113], v[136:137], s[22:23], v[183:184]
	v_fma_f64 v[114:115], v[144:145], s[22:23], -v[185:186]
	v_add_f64 v[112:113], v[112:113], v[116:117]
	v_add_f64 v[114:115], v[114:115], v[118:119]
	v_fma_f64 v[116:117], v[136:137], s[16:17], v[191:192]
	;; [unrolled: 4-line block ×5, first 2 shown]
	v_fma_f64 v[134:135], v[144:145], s[18:19], -v[154:155]
	v_add_f64 v[132:133], v[132:133], v[161:162]
	v_add_f64 v[134:135], v[134:135], v[163:164]
	s_and_saveexec_b64 s[24:25], s[4:5]
	s_cbranch_execz .LBB0_11
; %bb.10:
	v_mul_f64 v[161:162], v[197:198], s[16:17]
	v_mov_b32_e32 v164, v11
	v_mov_b32_e32 v163, v10
	v_mul_f64 v[10:11], v[245:246], s[14:15]
	buffer_store_dword v161, off, s[44:47], 0 offset:248 ; 4-byte Folded Spill
	s_nop 0
	buffer_store_dword v162, off, s[44:47], 0 offset:252 ; 4-byte Folded Spill
	v_mul_f64 v[161:162], v[199:200], s[16:17]
	buffer_store_dword v161, off, s[44:47], 0 offset:304 ; 4-byte Folded Spill
	s_nop 0
	buffer_store_dword v162, off, s[44:47], 0 offset:308 ; 4-byte Folded Spill
	;; [unrolled: 4-line block ×3, first 2 shown]
	buffer_store_dword v167, off, s[44:47], 0 offset:232 ; 4-byte Folded Spill
	s_nop 0
	buffer_store_dword v168, off, s[44:47], 0 offset:236 ; 4-byte Folded Spill
	buffer_store_dword v171, off, s[44:47], 0 offset:280 ; 4-byte Folded Spill
	s_nop 0
	buffer_store_dword v172, off, s[44:47], 0 offset:284 ; 4-byte Folded Spill
	;; [unrolled: 3-line block ×4, first 2 shown]
	v_mul_f64 v[4:5], v[197:198], s[18:19]
	v_mov_b32_e32 v171, v157
	v_mul_f64 v[167:168], v[199:200], s[14:15]
	v_mov_b32_e32 v161, v227
	v_mov_b32_e32 v162, v228
	v_mul_f64 v[227:228], v[136:137], s[22:23]
	buffer_store_dword v4, off, s[44:47], 0 offset:432 ; 4-byte Folded Spill
	s_nop 0
	buffer_store_dword v5, off, s[44:47], 0 offset:436 ; 4-byte Folded Spill
	buffer_store_dword v159, off, s[44:47], 0 offset:344 ; 4-byte Folded Spill
	s_nop 0
	buffer_store_dword v160, off, s[44:47], 0 offset:348 ; 4-byte Folded Spill
	;; [unrolled: 3-line block ×3, first 2 shown]
	v_mul_f64 v[4:5], v[211:212], s[14:15]
	buffer_store_dword v175, off, s[44:47], 0 offset:224 ; 4-byte Folded Spill
	s_nop 0
	buffer_store_dword v176, off, s[44:47], 0 offset:228 ; 4-byte Folded Spill
	buffer_store_dword v169, off, s[44:47], 0 offset:256 ; 4-byte Folded Spill
	s_nop 0
	buffer_store_dword v170, off, s[44:47], 0 offset:260 ; 4-byte Folded Spill
	v_mul_f64 v[169:170], v[199:200], s[20:21]
	v_mov_b32_e32 v175, v208
	v_mul_f64 v[207:208], v[197:198], s[20:21]
	v_mul_f64 v[197:198], v[197:198], s[22:23]
	buffer_store_dword v4, off, s[44:47], 0 offset:312 ; 4-byte Folded Spill
	s_nop 0
	buffer_store_dword v5, off, s[44:47], 0 offset:316 ; 4-byte Folded Spill
	v_mul_f64 v[4:5], v[213:214], s[14:15]
	v_mul_f64 v[205:206], v[199:200], s[18:19]
	;; [unrolled: 1-line block ×4, first 2 shown]
	buffer_store_dword v4, off, s[44:47], 0 offset:328 ; 4-byte Folded Spill
	s_nop 0
	buffer_store_dword v5, off, s[44:47], 0 offset:332 ; 4-byte Folded Spill
	v_mul_f64 v[4:5], v[211:212], s[20:21]
	buffer_store_dword v4, off, s[44:47], 0 offset:352 ; 4-byte Folded Spill
	s_nop 0
	buffer_store_dword v5, off, s[44:47], 0 offset:356 ; 4-byte Folded Spill
	v_mul_f64 v[4:5], v[213:214], s[20:21]
	;; [unrolled: 4-line block ×4, first 2 shown]
	buffer_store_dword v158, off, s[44:47], 0 offset:220 ; 4-byte Folded Spill
	buffer_store_dword v0, off, s[44:47], 0 offset:416 ; 4-byte Folded Spill
	s_nop 0
	buffer_store_dword v1, off, s[44:47], 0 offset:420 ; 4-byte Folded Spill
	buffer_store_dword v2, off, s[44:47], 0 offset:424 ; 4-byte Folded Spill
	s_nop 0
	buffer_store_dword v3, off, s[44:47], 0 offset:428 ; 4-byte Folded Spill
	v_mul_f64 v[2:3], v[213:214], s[18:19]
	v_mul_f64 v[157:158], v[213:214], s[22:23]
	;; [unrolled: 1-line block ×3, first 2 shown]
	buffer_store_dword v4, off, s[44:47], 0 offset:320 ; 4-byte Folded Spill
	s_nop 0
	buffer_store_dword v5, off, s[44:47], 0 offset:324 ; 4-byte Folded Spill
	v_mul_f64 v[4:5], v[245:246], s[18:19]
	v_mul_f64 v[0:1], v[211:212], s[18:19]
	;; [unrolled: 1-line block ×3, first 2 shown]
	v_add_f64 v[2:3], v[229:230], v[2:3]
	v_mul_f64 v[229:230], v[144:145], s[16:17]
	v_add_f64 v[213:214], v[237:238], v[213:214]
	v_mul_f64 v[237:238], v[189:190], s[22:23]
	buffer_store_dword v4, off, s[44:47], 0 offset:360 ; 4-byte Folded Spill
	s_nop 0
	buffer_store_dword v5, off, s[44:47], 0 offset:364 ; 4-byte Folded Spill
	v_mul_f64 v[4:5], v[243:244], s[22:23]
	v_add_f64 v[211:212], v[211:212], -v[233:234]
	v_mul_f64 v[233:234], v[144:145], s[20:21]
	v_add_f64 v[140:141], v[140:141], v[229:230]
	buffer_store_dword v4, off, s[44:47], 0 offset:368 ; 4-byte Folded Spill
	s_nop 0
	buffer_store_dword v5, off, s[44:47], 0 offset:372 ; 4-byte Folded Spill
	v_mul_f64 v[4:5], v[245:246], s[22:23]
	v_add_f64 v[138:139], v[138:139], v[237:238]
	v_add_f64 v[148:149], v[148:149], v[233:234]
	buffer_store_dword v4, off, s[44:47], 0 offset:472 ; 4-byte Folded Spill
	s_nop 0
	buffer_store_dword v5, off, s[44:47], 0 offset:476 ; 4-byte Folded Spill
	v_mul_f64 v[4:5], v[243:244], s[14:15]
	buffer_store_dword v4, off, s[44:47], 0 offset:448 ; 4-byte Folded Spill
	s_nop 0
	buffer_store_dword v5, off, s[44:47], 0 offset:452 ; 4-byte Folded Spill
	buffer_store_dword v98, off, s[44:47], 0 offset:240 ; 4-byte Folded Spill
	s_nop 0
	buffer_store_dword v99, off, s[44:47], 0 offset:244 ; 4-byte Folded Spill
	v_mul_f64 v[4:5], v[187:188], s[20:21]
	buffer_store_dword v16, off, s[44:47], 0 offset:272 ; 4-byte Folded Spill
	s_nop 0
	buffer_store_dword v17, off, s[44:47], 0 offset:276 ; 4-byte Folded Spill
	buffer_store_dword v18, off, s[44:47], 0 offset:288 ; 4-byte Folded Spill
	s_nop 0
	buffer_store_dword v19, off, s[44:47], 0 offset:292 ; 4-byte Folded Spill
	v_mul_f64 v[18:19], v[245:246], s[16:17]
	v_mul_f64 v[245:246], v[245:246], s[20:21]
	;; [unrolled: 1-line block ×4, first 2 shown]
	buffer_store_dword v4, off, s[44:47], 0 offset:336 ; 4-byte Folded Spill
	s_nop 0
	buffer_store_dword v5, off, s[44:47], 0 offset:340 ; 4-byte Folded Spill
	v_mul_f64 v[4:5], v[189:190], s[20:21]
	buffer_store_dword v4, off, s[44:47], 0 offset:376 ; 4-byte Folded Spill
	s_nop 0
	buffer_store_dword v5, off, s[44:47], 0 offset:380 ; 4-byte Folded Spill
	v_mul_f64 v[4:5], v[187:188], s[18:19]
	v_add_f64 v[18:19], v[177:178], v[18:19]
	v_add_f64 v[181:182], v[181:182], v[245:246]
	v_mul_f64 v[245:246], v[144:145], s[22:23]
	v_mul_f64 v[177:178], v[144:145], s[14:15]
	;; [unrolled: 1-line block ×3, first 2 shown]
	v_add_f64 v[16:17], v[16:17], -v[249:250]
	buffer_store_dword v4, off, s[44:47], 0 offset:384 ; 4-byte Folded Spill
	s_nop 0
	buffer_store_dword v5, off, s[44:47], 0 offset:388 ; 4-byte Folded Spill
	buffer_store_dword v20, off, s[44:47], 0 offset:392 ; 4-byte Folded Spill
	s_nop 0
	buffer_store_dword v21, off, s[44:47], 0 offset:396 ; 4-byte Folded Spill
	v_mul_f64 v[4:5], v[189:190], s[18:19]
	v_mov_b32_e32 v20, v173
	v_mov_b32_e32 v21, v174
	v_mul_f64 v[173:174], v[189:190], s[16:17]
	v_mul_f64 v[189:190], v[189:190], s[14:15]
	buffer_store_dword v4, off, s[44:47], 0 offset:480 ; 4-byte Folded Spill
	s_nop 0
	buffer_store_dword v5, off, s[44:47], 0 offset:484 ; 4-byte Folded Spill
	v_mul_f64 v[4:5], v[187:188], s[16:17]
	buffer_store_dword v4, off, s[44:47], 0 offset:464 ; 4-byte Folded Spill
	s_nop 0
	buffer_store_dword v5, off, s[44:47], 0 offset:468 ; 4-byte Folded Spill
	buffer_load_dword v4, off, s[44:47], 0 offset:124 ; 4-byte Folded Reload
	s_nop 0
	buffer_load_dword v5, off, s[44:47], 0 offset:128 ; 4-byte Folded Reload
	buffer_load_dword v98, off, s[44:47], 0 offset:100 ; 4-byte Folded Reload
	;; [unrolled: 1-line block ×3, first 2 shown]
	v_add_f64 v[142:143], v[142:143], v[189:190]
	s_waitcnt vmcnt(2)
	v_add_f64 v[199:200], v[4:5], v[199:200]
	s_waitcnt vmcnt(0)
	v_add_f64 v[169:170], v[98:99], v[169:170]
	buffer_load_dword v98, off, s[44:47], 0 offset:108 ; 4-byte Folded Reload
	buffer_load_dword v99, off, s[44:47], 0 offset:112 ; 4-byte Folded Reload
	v_mov_b32_e32 v4, v235
	v_mov_b32_e32 v5, v236
	v_mul_f64 v[235:236], v[187:188], s[22:23]
	v_mul_f64 v[187:188], v[187:188], s[14:15]
	v_add_f64 v[199:200], v[122:123], v[199:200]
	v_add_f64 v[169:170], v[122:123], v[169:170]
	;; [unrolled: 1-line block ×4, first 2 shown]
	v_mul_f64 v[213:214], v[136:137], s[20:21]
	v_add_f64 v[169:170], v[181:182], v[199:200]
	v_add_f64 v[2:3], v[18:19], v[2:3]
	v_add_f64 v[181:182], v[243:244], -v[251:252]
	v_add_f64 v[18:19], v[154:155], v[144:145]
	v_add_f64 v[144:145], v[187:188], -v[195:196]
	v_add_f64 v[142:143], v[142:143], v[169:170]
	v_add_f64 v[2:3], v[138:139], v[2:3]
	;; [unrolled: 1-line block ×3, first 2 shown]
	s_waitcnt vmcnt(0)
	v_add_f64 v[197:198], v[197:198], -v[98:99]
	buffer_load_dword v98, off, s[44:47], 0 offset:92 ; 4-byte Folded Reload
	buffer_load_dword v99, off, s[44:47], 0 offset:96 ; 4-byte Folded Reload
	v_add_f64 v[197:198], v[120:121], v[197:198]
	v_add_f64 v[189:190], v[211:212], v[197:198]
	buffer_load_dword v197, off, s[44:47], 0 offset:164 ; 4-byte Folded Reload
	buffer_load_dword v198, off, s[44:47], 0 offset:168 ; 4-byte Folded Reload
	;; [unrolled: 1-line block ×4, first 2 shown]
	v_add_f64 v[154:155], v[181:182], v[189:190]
	v_add_f64 v[181:182], v[144:145], v[154:155]
	;; [unrolled: 1-line block ×3, first 2 shown]
	v_add_f64 v[144:145], v[235:236], -v[193:194]
	v_add_f64 v[154:155], v[154:155], v[8:9]
	s_waitcnt vmcnt(4)
	v_add_f64 v[207:208], v[207:208], -v[98:99]
	v_mov_b32_e32 v98, v231
	v_mov_b32_e32 v99, v232
	v_mul_f64 v[231:232], v[136:137], s[18:19]
	v_mul_f64 v[136:137], v[136:137], s[14:15]
	v_add_f64 v[136:137], v[136:137], -v[150:151]
	v_add_f64 v[150:151], v[247:248], v[167:168]
	s_waitcnt vmcnt(2)
	v_add_f64 v[0:1], v[0:1], -v[197:198]
	s_waitcnt vmcnt(0)
	v_add_f64 v[177:178], v[138:139], v[205:206]
	v_add_f64 v[138:139], v[18:19], v[142:143]
	v_add_f64 v[142:143], v[169:170], v[2:3]
	buffer_load_dword v2, off, s[44:47], 0 offset:132 ; 4-byte Folded Reload
	buffer_load_dword v3, off, s[44:47], 0 offset:136 ; 4-byte Folded Reload
	;; [unrolled: 1-line block ×4, first 2 shown]
	v_add_f64 v[18:19], v[231:232], -v[152:153]
	v_add_f64 v[152:153], v[122:123], v[14:15]
	v_add_f64 v[197:198], v[120:121], v[207:208]
	v_add_f64 v[150:151], v[122:123], v[150:151]
	v_mov_b32_e32 v208, v175
	v_add_f64 v[152:153], v[152:153], v[163:164]
	v_add_f64 v[0:1], v[0:1], v[197:198]
	;; [unrolled: 1-line block ×5, first 2 shown]
	s_waitcnt vmcnt(2)
	v_add_f64 v[2:3], v[2:3], v[157:158]
	s_waitcnt vmcnt(0)
	v_add_f64 v[14:15], v[12:13], v[10:11]
	buffer_load_dword v10, off, s[44:47], 0 offset:432 ; 4-byte Folded Reload
	buffer_load_dword v11, off, s[44:47], 0 offset:436 ; 4-byte Folded Reload
	v_add_f64 v[157:158], v[179:180], v[173:174]
	v_add_f64 v[2:3], v[2:3], v[16:17]
	;; [unrolled: 1-line block ×4, first 2 shown]
	v_add_f64 v[157:158], v[213:214], -v[146:147]
	s_waitcnt vmcnt(0)
	v_add_f64 v[144:145], v[10:11], -v[4:5]
	buffer_load_dword v4, off, s[44:47], 0 offset:76 ; 4-byte Folded Reload
	buffer_load_dword v5, off, s[44:47], 0 offset:80 ; 4-byte Folded Reload
	;; [unrolled: 1-line block ×4, first 2 shown]
	v_add_f64 v[144:145], v[120:121], v[144:145]
	s_waitcnt vmcnt(0)
	v_add_f64 v[16:17], v[4:5], v[10:11]
	buffer_load_dword v4, off, s[44:47], 0 offset:116 ; 4-byte Folded Reload
	buffer_load_dword v5, off, s[44:47], 0 offset:120 ; 4-byte Folded Reload
	buffer_load_dword v6, off, s[44:47], 0 offset:440 ; 4-byte Folded Reload
	buffer_load_dword v7, off, s[44:47], 0 offset:444 ; 4-byte Folded Reload
	v_add_f64 v[14:15], v[16:17], v[150:151]
	s_waitcnt vmcnt(0)
	v_add_f64 v[167:168], v[6:7], -v[4:5]
	buffer_load_dword v4, off, s[44:47], 0 offset:172 ; 4-byte Folded Reload
	buffer_load_dword v5, off, s[44:47], 0 offset:176 ; 4-byte Folded Reload
	;; [unrolled: 1-line block ×4, first 2 shown]
	v_add_f64 v[144:145], v[167:168], v[144:145]
	s_waitcnt vmcnt(0)
	v_add_f64 v[10:11], v[4:5], v[6:7]
	buffer_load_dword v4, off, s[44:47], 0 offset:408 ; 4-byte Folded Reload
	buffer_load_dword v5, off, s[44:47], 0 offset:412 ; 4-byte Folded Reload
	v_add_f64 v[10:11], v[10:11], v[14:15]
	s_waitcnt vmcnt(0)
	v_add_f64 v[16:17], v[152:153], v[4:5]
	buffer_load_dword v4, off, s[44:47], 0 offset:400 ; 4-byte Folded Reload
	buffer_load_dword v5, off, s[44:47], 0 offset:404 ; 4-byte Folded Reload
	s_waitcnt vmcnt(0)
	v_add_f64 v[150:151], v[154:155], v[4:5]
	buffer_load_dword v4, off, s[44:47], 0 offset:180 ; 4-byte Folded Reload
	buffer_load_dword v5, off, s[44:47], 0 offset:184 ; 4-byte Folded Reload
	;; [unrolled: 1-line block ×4, first 2 shown]
	s_waitcnt vmcnt(0)
	v_add_f64 v[12:13], v[6:7], -v[4:5]
	buffer_load_dword v4, off, s[44:47], 0 offset:480 ; 4-byte Folded Reload
	buffer_load_dword v5, off, s[44:47], 0 offset:484 ; 4-byte Folded Reload
	v_add_f64 v[12:13], v[12:13], v[144:145]
	s_waitcnt vmcnt(0)
	v_add_f64 v[152:153], v[22:23], v[4:5]
	buffer_load_dword v4, off, s[44:47], 0 offset:424 ; 4-byte Folded Reload
	buffer_load_dword v5, off, s[44:47], 0 offset:428 ; 4-byte Folded Reload
	v_add_f64 v[10:11], v[152:153], v[10:11]
	s_waitcnt vmcnt(0)
	v_add_f64 v[14:15], v[16:17], v[4:5]
	;; [unrolled: 5-line block ×3, first 2 shown]
	buffer_load_dword v4, off, s[44:47], 0 offset:464 ; 4-byte Folded Reload
	buffer_load_dword v5, off, s[44:47], 0 offset:468 ; 4-byte Folded Reload
	s_waitcnt vmcnt(0)
	v_add_f64 v[146:147], v[4:5], -v[253:254]
	buffer_load_dword v4, off, s[44:47], 0 offset:304 ; 4-byte Folded Reload
	buffer_load_dword v5, off, s[44:47], 0 offset:308 ; 4-byte Folded Reload
	;; [unrolled: 1-line block ×4, first 2 shown]
	v_add_f64 v[12:13], v[146:147], v[12:13]
	v_add_f64 v[146:147], v[140:141], v[10:11]
	;; [unrolled: 1-line block ×4, first 2 shown]
	s_waitcnt vmcnt(0)
	v_add_f64 v[144:145], v[6:7], v[4:5]
	buffer_load_dword v4, off, s[44:47], 0 offset:280 ; 4-byte Folded Reload
	buffer_load_dword v5, off, s[44:47], 0 offset:284 ; 4-byte Folded Reload
	v_add_f64 v[122:123], v[122:123], v[144:145]
	s_waitcnt vmcnt(0)
	v_add_f64 v[16:17], v[16:17], v[4:5]
	buffer_load_dword v4, off, s[44:47], 0 offset:248 ; 4-byte Folded Reload
	buffer_load_dword v5, off, s[44:47], 0 offset:252 ; 4-byte Folded Reload
	s_waitcnt vmcnt(0)
	v_add_f64 v[150:151], v[4:5], -v[80:81]
	buffer_load_dword v4, off, s[44:47], 0 offset:264 ; 4-byte Folded Reload
	buffer_load_dword v5, off, s[44:47], 0 offset:268 ; 4-byte Folded Reload
	buffer_load_dword v6, off, s[44:47], 0 offset:296 ; 4-byte Folded Reload
	buffer_load_dword v7, off, s[44:47], 0 offset:300 ; 4-byte Folded Reload
	v_add_f64 v[150:151], v[120:121], v[150:151]
	s_waitcnt vmcnt(0)
	v_add_f64 v[152:153], v[4:5], -v[6:7]
	buffer_load_dword v4, off, s[44:47], 0 offset:68 ; 4-byte Folded Reload
	buffer_load_dword v5, off, s[44:47], 0 offset:72 ; 4-byte Folded Reload
	buffer_load_dword v6, off, s[44:47], 0 offset:352 ; 4-byte Folded Reload
	buffer_load_dword v7, off, s[44:47], 0 offset:356 ; 4-byte Folded Reload
	v_add_f64 v[120:121], v[120:121], v[152:153]
	;; [unrolled: 7-line block ×3, first 2 shown]
	s_waitcnt vmcnt(0)
	v_add_f64 v[163:164], v[4:5], v[6:7]
	buffer_load_dword v4, off, s[44:47], 0 offset:52 ; 4-byte Folded Reload
	buffer_load_dword v5, off, s[44:47], 0 offset:56 ; 4-byte Folded Reload
	;; [unrolled: 1-line block ×4, first 2 shown]
	v_add_f64 v[122:123], v[163:164], v[122:123]
	s_waitcnt vmcnt(0)
	v_add_f64 v[144:145], v[6:7], -v[4:5]
	buffer_load_dword v4, off, s[44:47], 0 offset:256 ; 4-byte Folded Reload
	buffer_load_dword v5, off, s[44:47], 0 offset:260 ; 4-byte Folded Reload
	v_add_f64 v[144:145], v[144:145], v[150:151]
	s_waitcnt vmcnt(0)
	v_add_f64 v[14:15], v[14:15], v[4:5]
	buffer_load_dword v4, off, s[44:47], 0 offset:232 ; 4-byte Folded Reload
	buffer_load_dword v5, off, s[44:47], 0 offset:236 ; 4-byte Folded Reload
	v_add_f64 v[14:15], v[14:15], v[165:166]
	s_waitcnt vmcnt(0)
	v_add_f64 v[16:17], v[16:17], v[4:5]
	buffer_load_dword v4, off, s[44:47], 0 offset:156 ; 4-byte Folded Reload
	buffer_load_dword v5, off, s[44:47], 0 offset:160 ; 4-byte Folded Reload
	;; [unrolled: 1-line block ×4, first 2 shown]
	s_waitcnt vmcnt(0)
	v_add_f64 v[8:9], v[6:7], -v[4:5]
	buffer_load_dword v4, off, s[44:47], 0 offset:148 ; 4-byte Folded Reload
	buffer_load_dword v5, off, s[44:47], 0 offset:152 ; 4-byte Folded Reload
	;; [unrolled: 1-line block ×4, first 2 shown]
	v_add_f64 v[8:9], v[8:9], v[120:121]
	v_add_f64 v[120:121], v[159:160], -v[191:192]
	s_waitcnt vmcnt(0)
	v_add_f64 v[6:7], v[4:5], v[6:7]
	buffer_load_dword v4, off, s[44:47], 0 offset:140 ; 4-byte Folded Reload
	buffer_load_dword v5, off, s[44:47], 0 offset:144 ; 4-byte Folded Reload
	;; [unrolled: 1-line block ×4, first 2 shown]
	v_add_f64 v[6:7], v[6:7], v[122:123]
	v_add_f64 v[122:123], v[148:149], v[2:3]
	s_waitcnt vmcnt(0)
	v_add_f64 v[4:5], v[20:21], -v[4:5]
	buffer_load_dword v20, off, s[44:47], 0 offset:392 ; 4-byte Folded Reload
	buffer_load_dword v21, off, s[44:47], 0 offset:396 ; 4-byte Folded Reload
	v_add_f64 v[4:5], v[4:5], v[144:145]
	v_add_f64 v[144:145], v[185:186], v[245:246]
	s_waitcnt vmcnt(0)
	v_add_f64 v[16:17], v[16:17], v[20:21]
	buffer_load_dword v20, off, s[44:47], 0 offset:212 ; 4-byte Folded Reload
	buffer_load_dword v21, off, s[44:47], 0 offset:216 ; 4-byte Folded Reload
	;; [unrolled: 1-line block ×4, first 2 shown]
	s_waitcnt vmcnt(0)
	v_add_f64 v[150:151], v[22:23], -v[20:21]
	buffer_load_dword v20, off, s[44:47], 0 offset:204 ; 4-byte Folded Reload
	buffer_load_dword v21, off, s[44:47], 0 offset:208 ; 4-byte Folded Reload
	;; [unrolled: 1-line block ×4, first 2 shown]
	v_add_f64 v[8:9], v[150:151], v[8:9]
	s_waitcnt vmcnt(0)
	v_add_f64 v[22:23], v[20:21], v[22:23]
	buffer_load_dword v20, off, s[44:47], 0 offset:196 ; 4-byte Folded Reload
	buffer_load_dword v21, off, s[44:47], 0 offset:200 ; 4-byte Folded Reload
	;; [unrolled: 1-line block ×4, first 2 shown]
	v_add_f64 v[6:7], v[22:23], v[6:7]
	v_add_f64 v[22:23], v[227:228], -v[183:184]
	v_add_f64 v[150:151], v[144:145], v[6:7]
	v_add_f64 v[144:145], v[120:121], v[8:9]
	;; [unrolled: 1-line block ×3, first 2 shown]
	v_mov_b32_e32 v157, v171
	s_waitcnt vmcnt(0)
	v_add_f64 v[20:21], v[80:81], -v[20:21]
	buffer_load_dword v80, off, s[44:47], 0 offset:288 ; 4-byte Folded Reload
	buffer_load_dword v81, off, s[44:47], 0 offset:292 ; 4-byte Folded Reload
	v_add_f64 v[4:5], v[20:21], v[4:5]
	v_add_f64 v[148:149], v[22:23], v[4:5]
	s_waitcnt vmcnt(0)
	v_add_f64 v[14:15], v[14:15], v[80:81]
	buffer_load_dword v80, off, s[44:47], 0 offset:272 ; 4-byte Folded Reload
	buffer_load_dword v81, off, s[44:47], 0 offset:276 ; 4-byte Folded Reload
	s_waitcnt vmcnt(0)
	v_add_f64 v[16:17], v[16:17], v[80:81]
	buffer_load_dword v80, off, s[44:47], 0 offset:240 ; 4-byte Folded Reload
	buffer_load_dword v81, off, s[44:47], 0 offset:244 ; 4-byte Folded Reload
	;; [unrolled: 1-line block ×5, first 2 shown]
	v_add_f64 v[16:17], v[16:17], v[98:99]
	s_waitcnt vmcnt(3)
	v_add_f64 v[14:15], v[14:15], v[80:81]
	s_waitcnt vmcnt(1)
	v_add_f64 v[152:153], v[16:17], v[2:3]
	v_add_f64 v[154:155], v[14:15], v[161:162]
	ds_write_b128 v255, v[152:155]
	ds_write_b128 v255, v[148:151] offset:2352
	ds_write_b128 v255, v[144:147] offset:4704
	;; [unrolled: 1-line block ×10, first 2 shown]
.LBB0_11:
	s_or_b64 exec, exec, s[24:25]
	v_mov_b32_e32 v0, s13
	v_addc_co_u32_e64 v6, vcc, 0, v0, s[2:3]
	s_movk_i32 s2, 0x6510
	v_add_co_u32_e32 v120, vcc, s2, v156
	s_movk_i32 s12, 0x6000
	s_mov_b64 s[2:3], vcc
	v_add_co_u32_e32 v0, vcc, s12, v156
	v_addc_co_u32_e32 v1, vcc, 0, v6, vcc
	s_mov_b32 s13, 0x8000
	v_add_co_u32_e32 v2, vcc, s13, v156
	v_addc_co_u32_e32 v3, vcc, 0, v6, vcc
	s_mov_b32 s13, 0xa000
	;; [unrolled: 3-line block ×3, first 2 shown]
	s_waitcnt vmcnt(0) lgkmcnt(0)
	s_barrier
	global_load_dwordx4 v[136:139], v[2:3], off offset:1728
	global_load_dwordx4 v[140:143], v[4:5], off offset:2160
	v_add_co_u32_e32 v2, vcc, s13, v156
	v_addc_co_u32_e32 v3, vcc, 0, v6, vcc
	s_mov_b32 s13, 0xb000
	global_load_dwordx4 v[144:147], v[2:3], off offset:1328
	v_add_co_u32_e32 v2, vcc, s13, v156
	v_addc_co_u32_e32 v3, vcc, 0, v6, vcc
	global_load_dwordx4 v[148:151], v[2:3], off offset:1760
	global_load_dwordx4 v[152:155], v[0:1], off offset:1296
	v_addc_co_u32_e64 v121, vcc, 0, v6, s[2:3]
	global_load_dwordx4 v[161:164], v[120:121], off offset:3696
	ds_read_b128 v[165:168], v255 offset:8624
	ds_read_b128 v[169:172], v255 offset:17248
	ds_read_b128 v[173:176], v255
	ds_read_b128 v[177:180], v255 offset:3696
	ds_read_b128 v[181:184], v255 offset:12320
	;; [unrolled: 1-line block ×3, first 2 shown]
	s_waitcnt vmcnt(5) lgkmcnt(5)
	v_mul_f64 v[0:1], v[167:168], v[138:139]
	v_mul_f64 v[2:3], v[165:166], v[138:139]
	s_waitcnt vmcnt(4) lgkmcnt(4)
	v_mul_f64 v[4:5], v[171:172], v[142:143]
	v_mul_f64 v[6:7], v[169:170], v[142:143]
	;; [unrolled: 3-line block ×3, first 2 shown]
	s_waitcnt vmcnt(2) lgkmcnt(0)
	v_mul_f64 v[12:13], v[187:188], v[150:151]
	s_waitcnt vmcnt(1)
	v_mul_f64 v[16:17], v[175:176], v[154:155]
	v_mul_f64 v[18:19], v[173:174], v[154:155]
	;; [unrolled: 1-line block ×3, first 2 shown]
	s_waitcnt vmcnt(0)
	v_mul_f64 v[20:21], v[179:180], v[163:164]
	v_mul_f64 v[22:23], v[177:178], v[163:164]
	v_fma_f64 v[163:164], v[165:166], v[136:137], -v[0:1]
	v_fma_f64 v[165:166], v[167:168], v[136:137], v[2:3]
	v_fma_f64 v[136:137], v[169:170], v[140:141], -v[4:5]
	v_fma_f64 v[138:139], v[171:172], v[140:141], v[6:7]
	;; [unrolled: 2-line block ×6, first 2 shown]
	ds_write_b128 v255, v[163:166] offset:8624
	ds_write_b128 v255, v[136:139] offset:17248
	;; [unrolled: 1-line block ×3, first 2 shown]
	ds_write_b128 v255, v[150:153]
	ds_write_b128 v255, v[167:170] offset:3696
	ds_write_b128 v255, v[144:147] offset:20944
	s_and_saveexec_b64 s[2:3], s[0:1]
	s_cbranch_execz .LBB0_13
; %bb.12:
	v_add_co_u32_e32 v0, vcc, 0x1000, v120
	v_addc_co_u32_e32 v1, vcc, 0, v121, vcc
	global_load_dwordx4 v[136:139], v[0:1], off offset:3296
	v_add_co_u32_e32 v0, vcc, s12, v120
	s_movk_i32 s13, 0x3000
	v_addc_co_u32_e32 v1, vcc, 0, v121, vcc
	global_load_dwordx4 v[140:143], v[0:1], off offset:64
	v_add_co_u32_e32 v0, vcc, s13, v120
	v_addc_co_u32_e32 v1, vcc, 0, v121, vcc
	global_load_dwordx4 v[120:123], v[0:1], off offset:3728
	ds_read_b128 v[144:147], v255 offset:24640
	ds_read_b128 v[148:151], v255 offset:7392
	ds_read_b128 v[152:155], v255 offset:16016
	s_waitcnt vmcnt(2) lgkmcnt(1)
	v_mul_f64 v[2:3], v[150:151], v[138:139]
	v_mul_f64 v[4:5], v[148:149], v[138:139]
	s_waitcnt vmcnt(1)
	v_mul_f64 v[0:1], v[146:147], v[142:143]
	v_mul_f64 v[10:11], v[144:145], v[142:143]
	v_fma_f64 v[142:143], v[148:149], v[136:137], -v[2:3]
	s_waitcnt vmcnt(0) lgkmcnt(0)
	v_mul_f64 v[6:7], v[154:155], v[122:123]
	v_mul_f64 v[8:9], v[152:153], v[122:123]
	v_fma_f64 v[138:139], v[144:145], v[140:141], -v[0:1]
	v_fma_f64 v[144:145], v[150:151], v[136:137], v[4:5]
	v_fma_f64 v[140:141], v[146:147], v[140:141], v[10:11]
	v_fma_f64 v[148:149], v[152:153], v[120:121], -v[6:7]
	v_fma_f64 v[150:151], v[154:155], v[120:121], v[8:9]
	ds_write_b128 v255, v[142:145] offset:7392
	ds_write_b128 v255, v[148:151] offset:16016
	;; [unrolled: 1-line block ×3, first 2 shown]
.LBB0_13:
	s_or_b64 exec, exec, s[2:3]
	s_waitcnt lgkmcnt(0)
	s_barrier
	ds_read_b128 v[148:151], v255
	ds_read_b128 v[136:139], v255 offset:3696
	ds_read_b128 v[152:155], v255 offset:8624
	ds_read_b128 v[140:143], v255 offset:12320
	ds_read_b128 v[144:147], v255 offset:17248
	ds_read_b128 v[120:123], v255 offset:20944
	s_and_saveexec_b64 s[2:3], s[0:1]
	s_cbranch_execz .LBB0_15
; %bb.14:
	ds_read_b128 v[132:135], v255 offset:7392
	ds_read_b128 v[128:131], v255 offset:16016
	;; [unrolled: 1-line block ×3, first 2 shown]
.LBB0_15:
	s_or_b64 exec, exec, s[2:3]
	s_waitcnt lgkmcnt(1)
	v_add_f64 v[4:5], v[154:155], v[146:147]
	v_add_f64 v[0:1], v[152:153], v[144:145]
	;; [unrolled: 1-line block ×3, first 2 shown]
	v_add_f64 v[10:11], v[152:153], -v[144:145]
	v_add_f64 v[6:7], v[154:155], -v[146:147]
	s_mov_b32 s2, 0xe8584caa
	s_mov_b32 s3, 0xbfebb67a
	s_mov_b32 s13, 0x3febb67a
	v_fma_f64 v[4:5], v[4:5], -0.5, v[150:151]
	v_fma_f64 v[0:1], v[0:1], -0.5, v[148:149]
	s_mov_b32 s12, s2
	v_add_f64 v[8:9], v[150:151], v[154:155]
	s_waitcnt lgkmcnt(0)
	v_add_f64 v[14:15], v[140:141], v[120:121]
	v_add_f64 v[144:145], v[2:3], v[144:145]
	;; [unrolled: 1-line block ×4, first 2 shown]
	v_fma_f64 v[150:151], v[10:11], s[12:13], v[4:5]
	v_fma_f64 v[154:155], v[10:11], s[2:3], v[4:5]
	v_add_f64 v[4:5], v[130:131], v[126:127]
	v_fma_f64 v[148:149], v[6:7], s[2:3], v[0:1]
	v_fma_f64 v[152:153], v[6:7], s[12:13], v[0:1]
	v_add_f64 v[0:1], v[142:143], v[122:123]
	v_fma_f64 v[6:7], v[14:15], -0.5, v[136:137]
	v_add_f64 v[10:11], v[138:139], v[142:143]
	v_fma_f64 v[2:3], v[2:3], -0.5, v[132:133]
	v_add_f64 v[14:15], v[130:131], -v[126:127]
	v_fma_f64 v[4:5], v[4:5], -0.5, v[134:135]
	v_add_f64 v[16:17], v[128:129], -v[124:125]
	v_add_f64 v[146:147], v[8:9], v[146:147]
	v_add_f64 v[161:162], v[12:13], v[120:121]
	v_add_f64 v[8:9], v[142:143], -v[122:123]
	v_fma_f64 v[0:1], v[0:1], -0.5, v[138:139]
	v_add_f64 v[12:13], v[140:141], -v[120:121]
	v_add_f64 v[163:164], v[10:11], v[122:123]
	v_fma_f64 v[136:137], v[14:15], s[2:3], v[2:3]
	v_fma_f64 v[120:121], v[14:15], s[12:13], v[2:3]
	;; [unrolled: 1-line block ×8, first 2 shown]
	s_barrier
	ds_write_b128 v208, v[144:147]
	ds_write_b128 v208, v[148:151] offset:16
	ds_write_b128 v208, v[152:155] offset:32
	ds_write_b128 v209, v[161:164]
	ds_write_b128 v209, v[140:143] offset:16
	ds_write_b128 v209, v[165:168] offset:32
	s_and_saveexec_b64 s[2:3], s[0:1]
	s_cbranch_execz .LBB0_17
; %bb.16:
	v_add_f64 v[0:1], v[134:135], v[130:131]
	v_add_f64 v[2:3], v[132:133], v[128:129]
	v_add_f64 v[126:127], v[0:1], v[126:127]
	buffer_load_dword v0, off, s[44:47], 0 offset:48 ; 4-byte Folded Reload
	v_add_f64 v[124:125], v[2:3], v[124:125]
	s_waitcnt vmcnt(0)
	v_lshlrev_b32_e32 v0, 4, v0
	ds_write_b128 v0, v[136:139] offset:16
	ds_write_b128 v0, v[124:127]
	ds_write_b128 v0, v[120:123] offset:32
.LBB0_17:
	s_or_b64 exec, exec, s[2:3]
	s_waitcnt lgkmcnt(0)
	s_barrier
	ds_read_b128 v[124:127], v255 offset:3696
	ds_read_b128 v[128:131], v255 offset:7392
	;; [unrolled: 1-line block ×3, first 2 shown]
	ds_read_b128 v[140:143], v255
	ds_read_b128 v[144:147], v255 offset:14784
	ds_read_b128 v[148:151], v255 offset:18480
	;; [unrolled: 1-line block ×3, first 2 shown]
	s_mov_b32 s12, 0x37e14327
	s_waitcnt lgkmcnt(6)
	v_mul_f64 v[0:1], v[38:39], v[126:127]
	v_mul_f64 v[2:3], v[38:39], v[124:125]
	s_waitcnt lgkmcnt(5)
	v_mul_f64 v[4:5], v[34:35], v[130:131]
	v_mul_f64 v[6:7], v[34:35], v[128:129]
	;; [unrolled: 3-line block ×3, first 2 shown]
	v_mul_f64 v[16:17], v[46:47], v[150:151]
	v_mul_f64 v[18:19], v[46:47], v[148:149]
	v_fma_f64 v[0:1], v[36:37], v[124:125], v[0:1]
	v_fma_f64 v[2:3], v[36:37], v[126:127], -v[2:3]
	v_fma_f64 v[4:5], v[32:33], v[128:129], v[4:5]
	v_fma_f64 v[6:7], v[32:33], v[130:131], -v[6:7]
	v_mul_f64 v[12:13], v[30:31], v[134:135]
	v_mul_f64 v[14:15], v[30:31], v[132:133]
	;; [unrolled: 1-line block ×4, first 2 shown]
	v_fma_f64 v[8:9], v[40:41], v[152:153], v[8:9]
	v_fma_f64 v[10:11], v[40:41], v[154:155], -v[10:11]
	v_fma_f64 v[16:17], v[44:45], v[148:149], v[16:17]
	v_fma_f64 v[18:19], v[44:45], v[150:151], -v[18:19]
	;; [unrolled: 2-line block ×4, first 2 shown]
	v_add_f64 v[24:25], v[0:1], v[8:9]
	v_add_f64 v[26:27], v[2:3], v[10:11]
	v_add_f64 v[0:1], v[0:1], -v[8:9]
	v_add_f64 v[2:3], v[2:3], -v[10:11]
	v_add_f64 v[8:9], v[4:5], v[16:17]
	v_add_f64 v[10:11], v[6:7], v[18:19]
	v_add_f64 v[4:5], v[4:5], -v[16:17]
	v_add_f64 v[6:7], v[6:7], -v[18:19]
	;; [unrolled: 4-line block ×4, first 2 shown]
	v_add_f64 v[32:33], v[24:25], -v[16:17]
	v_add_f64 v[34:35], v[26:27], -v[18:19]
	;; [unrolled: 1-line block ×4, first 2 shown]
	v_add_f64 v[24:25], v[12:13], v[4:5]
	v_add_f64 v[26:27], v[14:15], v[6:7]
	v_add_f64 v[36:37], v[12:13], -v[4:5]
	v_add_f64 v[38:39], v[14:15], -v[6:7]
	v_add_f64 v[16:17], v[16:17], v[20:21]
	v_add_f64 v[18:19], v[18:19], v[22:23]
	v_add_f64 v[4:5], v[4:5], -v[0:1]
	v_add_f64 v[6:7], v[6:7], -v[2:3]
	s_mov_b32 s2, 0x36b3c0b5
	s_mov_b32 s16, 0xe976ee23
	;; [unrolled: 1-line block ×6, first 2 shown]
	v_add_f64 v[12:13], v[0:1], -v[12:13]
	v_add_f64 v[14:15], v[2:3], -v[14:15]
	v_add_f64 v[0:1], v[24:25], v[0:1]
	v_add_f64 v[2:3], v[26:27], v[2:3]
	;; [unrolled: 1-line block ×4, first 2 shown]
	v_mul_f64 v[20:21], v[32:33], s[12:13]
	v_mul_f64 v[22:23], v[34:35], s[12:13]
	;; [unrolled: 1-line block ×6, first 2 shown]
	s_mov_b32 s15, 0xbfebfeb5
	v_mul_f64 v[40:41], v[4:5], s[14:15]
	v_mul_f64 v[42:43], v[6:7], s[14:15]
	s_mov_b32 s18, 0xaaaaaaaa
	s_mov_b32 s20, 0x5476071b
	;; [unrolled: 1-line block ×8, first 2 shown]
	v_fma_f64 v[16:17], v[16:17], s[18:19], v[24:25]
	v_fma_f64 v[18:19], v[18:19], s[18:19], v[26:27]
	;; [unrolled: 1-line block ×4, first 2 shown]
	v_fma_f64 v[32:33], v[28:29], s[20:21], -v[32:33]
	v_fma_f64 v[34:35], v[30:31], s[20:21], -v[34:35]
	;; [unrolled: 1-line block ×4, first 2 shown]
	v_fma_f64 v[28:29], v[12:13], s[24:25], v[36:37]
	v_fma_f64 v[30:31], v[14:15], s[24:25], v[38:39]
	s_mov_b32 s29, 0x3fd5d0dc
	s_mov_b32 s28, s24
	v_fma_f64 v[12:13], v[12:13], s[28:29], -v[40:41]
	v_fma_f64 v[14:15], v[14:15], s[28:29], -v[42:43]
	;; [unrolled: 1-line block ×4, first 2 shown]
	s_mov_b32 s26, 0x37c3f68c
	s_mov_b32 s27, 0xbfdc38aa
	v_add_f64 v[8:9], v[8:9], v[16:17]
	v_add_f64 v[10:11], v[10:11], v[18:19]
	;; [unrolled: 1-line block ×6, first 2 shown]
	v_fma_f64 v[20:21], v[2:3], s[26:27], v[30:31]
	v_fma_f64 v[22:23], v[0:1], s[26:27], v[28:29]
	;; [unrolled: 1-line block ×6, first 2 shown]
	s_barrier
	v_add_f64 v[28:29], v[20:21], v[8:9]
	v_add_f64 v[30:31], v[10:11], -v[22:23]
	v_add_f64 v[32:33], v[14:15], v[16:17]
	v_add_f64 v[34:35], v[18:19], -v[12:13]
	v_add_f64 v[36:37], v[40:41], -v[2:3]
	v_add_f64 v[38:39], v[0:1], v[42:43]
	v_add_f64 v[40:41], v[2:3], v[40:41]
	v_add_f64 v[42:43], v[42:43], -v[0:1]
	v_add_f64 v[44:45], v[16:17], -v[14:15]
	v_add_f64 v[46:47], v[12:13], v[18:19]
	v_add_f64 v[124:125], v[8:9], -v[20:21]
	v_add_f64 v[126:127], v[22:23], v[10:11]
	ds_write_b128 v204, v[24:27]
	ds_write_b128 v204, v[28:31] offset:48
	ds_write_b128 v204, v[32:35] offset:96
	;; [unrolled: 1-line block ×6, first 2 shown]
	s_waitcnt lgkmcnt(0)
	s_barrier
	ds_read_b128 v[24:27], v255 offset:3696
	ds_read_b128 v[28:31], v255 offset:7392
	;; [unrolled: 1-line block ×3, first 2 shown]
	ds_read_b128 v[36:39], v255
	ds_read_b128 v[40:43], v255 offset:14784
	ds_read_b128 v[44:47], v255 offset:18480
	;; [unrolled: 1-line block ×3, first 2 shown]
	s_waitcnt lgkmcnt(0)
	v_mul_f64 v[0:1], v[62:63], v[26:27]
	v_mul_f64 v[2:3], v[62:63], v[24:25]
	;; [unrolled: 1-line block ×8, first 2 shown]
	v_fma_f64 v[0:1], v[60:61], v[24:25], v[0:1]
	v_fma_f64 v[2:3], v[60:61], v[26:27], -v[2:3]
	v_fma_f64 v[4:5], v[56:57], v[28:29], v[4:5]
	v_fma_f64 v[6:7], v[56:57], v[30:31], -v[6:7]
	v_mul_f64 v[12:13], v[54:55], v[34:35]
	v_mul_f64 v[14:15], v[54:55], v[32:33]
	;; [unrolled: 1-line block ×4, first 2 shown]
	v_fma_f64 v[8:9], v[64:65], v[124:125], v[8:9]
	v_fma_f64 v[10:11], v[64:65], v[126:127], -v[10:11]
	v_fma_f64 v[16:17], v[68:69], v[44:45], v[16:17]
	v_fma_f64 v[18:19], v[68:69], v[46:47], -v[18:19]
	;; [unrolled: 2-line block ×4, first 2 shown]
	v_add_f64 v[24:25], v[0:1], v[8:9]
	v_add_f64 v[26:27], v[2:3], v[10:11]
	v_add_f64 v[0:1], v[0:1], -v[8:9]
	v_add_f64 v[2:3], v[2:3], -v[10:11]
	v_add_f64 v[8:9], v[4:5], v[16:17]
	v_add_f64 v[10:11], v[6:7], v[18:19]
	v_add_f64 v[4:5], v[4:5], -v[16:17]
	v_add_f64 v[6:7], v[6:7], -v[18:19]
	;; [unrolled: 4-line block ×4, first 2 shown]
	v_add_f64 v[32:33], v[24:25], -v[16:17]
	v_add_f64 v[34:35], v[26:27], -v[18:19]
	;; [unrolled: 1-line block ×4, first 2 shown]
	v_add_f64 v[24:25], v[12:13], v[4:5]
	v_add_f64 v[26:27], v[14:15], v[6:7]
	v_add_f64 v[40:41], v[12:13], -v[4:5]
	v_add_f64 v[42:43], v[14:15], -v[6:7]
	v_add_f64 v[16:17], v[16:17], v[20:21]
	v_add_f64 v[18:19], v[18:19], v[22:23]
	v_add_f64 v[4:5], v[4:5], -v[0:1]
	v_add_f64 v[6:7], v[6:7], -v[2:3]
	v_add_f64 v[12:13], v[0:1], -v[12:13]
	v_add_f64 v[14:15], v[2:3], -v[14:15]
	v_add_f64 v[0:1], v[24:25], v[0:1]
	v_add_f64 v[2:3], v[26:27], v[2:3]
	;; [unrolled: 1-line block ×4, first 2 shown]
	v_mul_f64 v[20:21], v[32:33], s[12:13]
	v_mul_f64 v[22:23], v[34:35], s[12:13]
	;; [unrolled: 1-line block ×8, first 2 shown]
	v_fma_f64 v[16:17], v[16:17], s[18:19], v[24:25]
	v_fma_f64 v[18:19], v[18:19], s[18:19], v[26:27]
	;; [unrolled: 1-line block ×4, first 2 shown]
	v_fma_f64 v[32:33], v[28:29], s[20:21], -v[32:33]
	v_fma_f64 v[34:35], v[30:31], s[20:21], -v[34:35]
	;; [unrolled: 1-line block ×4, first 2 shown]
	v_fma_f64 v[28:29], v[12:13], s[24:25], v[36:37]
	v_fma_f64 v[30:31], v[14:15], s[24:25], v[38:39]
	v_fma_f64 v[4:5], v[4:5], s[14:15], -v[36:37]
	v_fma_f64 v[6:7], v[6:7], s[14:15], -v[38:39]
	;; [unrolled: 1-line block ×4, first 2 shown]
	v_add_f64 v[8:9], v[8:9], v[16:17]
	v_add_f64 v[10:11], v[10:11], v[18:19]
	;; [unrolled: 1-line block ×6, first 2 shown]
	v_fma_f64 v[20:21], v[2:3], s[26:27], v[30:31]
	v_fma_f64 v[22:23], v[0:1], s[26:27], v[28:29]
	;; [unrolled: 1-line block ×6, first 2 shown]
	s_barrier
	v_add_f64 v[28:29], v[20:21], v[8:9]
	v_add_f64 v[30:31], v[10:11], -v[22:23]
	v_add_f64 v[32:33], v[14:15], v[16:17]
	v_add_f64 v[34:35], v[18:19], -v[12:13]
	v_add_f64 v[36:37], v[40:41], -v[2:3]
	v_add_f64 v[38:39], v[0:1], v[42:43]
	v_add_f64 v[40:41], v[2:3], v[40:41]
	v_add_f64 v[42:43], v[42:43], -v[0:1]
	v_add_f64 v[44:45], v[16:17], -v[14:15]
	v_add_f64 v[46:47], v[12:13], v[18:19]
	v_add_f64 v[48:49], v[8:9], -v[20:21]
	v_add_f64 v[50:51], v[22:23], v[10:11]
	ds_write_b128 v210, v[24:27]
	ds_write_b128 v210, v[28:31] offset:336
	ds_write_b128 v210, v[32:35] offset:672
	;; [unrolled: 1-line block ×6, first 2 shown]
	s_waitcnt lgkmcnt(0)
	s_barrier
	s_and_saveexec_b64 s[2:3], s[4:5]
	s_cbranch_execz .LBB0_19
; %bb.18:
	ds_read_b128 v[24:27], v255
	ds_read_b128 v[28:31], v255 offset:2352
	ds_read_b128 v[32:35], v255 offset:4704
	;; [unrolled: 1-line block ×10, first 2 shown]
.LBB0_19:
	s_or_b64 exec, exec, s[2:3]
	s_and_saveexec_b64 s[2:3], s[4:5]
	s_cbranch_execz .LBB0_21
; %bb.20:
	s_waitcnt lgkmcnt(5)
	v_mul_f64 v[0:1], v[106:107], v[46:47]
	s_waitcnt lgkmcnt(4)
	v_mul_f64 v[2:3], v[96:97], v[50:51]
	v_mul_f64 v[4:5], v[106:107], v[44:45]
	;; [unrolled: 1-line block ×4, first 2 shown]
	s_waitcnt lgkmcnt(3)
	v_mul_f64 v[10:11], v[92:93], v[138:139]
	v_mul_f64 v[14:15], v[241:242], v[28:29]
	s_waitcnt lgkmcnt(0)
	v_mul_f64 v[16:17], v[102:103], v[112:113]
	v_fma_f64 v[52:53], v[104:105], v[44:45], v[0:1]
	v_fma_f64 v[44:45], v[94:95], v[48:49], v[2:3]
	v_mul_f64 v[2:3], v[92:93], v[136:137]
	v_fma_f64 v[54:55], v[104:105], v[46:47], -v[4:5]
	v_mul_f64 v[4:5], v[78:79], v[38:39]
	v_fma_f64 v[48:49], v[94:95], v[50:51], -v[6:7]
	v_fma_f64 v[56:57], v[82:83], v[40:41], v[8:9]
	v_fma_f64 v[46:47], v[90:91], v[136:137], v[10:11]
	v_mul_f64 v[8:9], v[241:242], v[30:31]
	v_mul_f64 v[10:11], v[102:103], v[114:115]
	v_fma_f64 v[50:51], v[90:91], v[138:139], -v[2:3]
	v_mul_f64 v[2:3], v[78:79], v[36:37]
	v_fma_f64 v[64:65], v[76:77], v[36:37], v[4:5]
	v_mul_f64 v[4:5], v[88:89], v[120:121]
	v_mul_f64 v[0:1], v[84:85], v[40:41]
	;; [unrolled: 1-line block ×3, first 2 shown]
	s_mov_b32 s22, 0xfd768dbf
	v_fma_f64 v[66:67], v[100:101], v[112:113], v[10:11]
	v_fma_f64 v[10:11], v[239:240], v[30:31], -v[14:15]
	v_fma_f64 v[68:69], v[76:77], v[38:39], -v[2:3]
	v_mul_f64 v[2:3], v[74:75], v[34:35]
	v_fma_f64 v[38:39], v[86:87], v[122:123], -v[4:5]
	v_mul_f64 v[4:5], v[110:111], v[118:119]
	s_mov_b32 s23, 0xbfd207e7
	v_fma_f64 v[60:61], v[82:83], v[42:43], -v[0:1]
	v_fma_f64 v[42:43], v[86:87], v[120:121], v[6:7]
	s_mov_b32 s28, 0xf8bb580b
	s_mov_b32 s20, 0x9bcd5057
	v_fma_f64 v[78:79], v[72:73], v[32:33], v[2:3]
	v_fma_f64 v[2:3], v[239:240], v[28:29], v[8:9]
	;; [unrolled: 1-line block ×3, first 2 shown]
	v_mul_f64 v[4:5], v[74:75], v[32:33]
	v_mul_f64 v[8:9], v[110:111], v[116:117]
	v_fma_f64 v[32:33], v[100:101], v[114:115], -v[16:17]
	s_mov_b32 s29, 0x3fe14ced
	s_mov_b32 s21, 0xbfeeb42a
	v_add_f64 v[82:83], v[64:65], -v[42:43]
	v_add_f64 v[16:17], v[2:3], -v[66:67]
	;; [unrolled: 1-line block ×3, first 2 shown]
	v_fma_f64 v[4:5], v[72:73], v[34:35], -v[4:5]
	v_fma_f64 v[34:35], v[108:109], v[118:119], -v[8:9]
	v_add_f64 v[8:9], v[10:11], -v[32:33]
	v_add_f64 v[20:21], v[10:11], v[32:33]
	v_add_f64 v[96:97], v[2:3], v[66:67]
	v_add_f64 v[102:103], v[68:69], -v[38:39]
	v_mul_f64 v[18:19], v[16:17], s[22:23]
	v_mul_f64 v[22:23], v[14:15], s[28:29]
	v_add_f64 v[104:105], v[78:79], v[70:71]
	v_add_f64 v[76:77], v[4:5], -v[34:35]
	v_mul_f64 v[28:29], v[8:9], s[22:23]
	v_add_f64 v[100:101], v[4:5], v[34:35]
	s_mov_b32 s16, 0xbb3a28a1
	s_mov_b32 s24, 0x8764f0ba
	v_fma_f64 v[30:31], v[20:21], s[20:21], v[18:19]
	s_mov_b32 s17, 0xbfe82f19
	s_mov_b32 s25, 0x3feaeb8c
	v_mul_f64 v[72:73], v[76:77], s[28:29]
	v_fma_f64 v[74:75], v[96:97], s[20:21], -v[28:29]
	v_add_f64 v[62:63], v[56:57], -v[46:47]
	v_mul_f64 v[12:13], v[82:83], s[16:17]
	v_add_f64 v[80:81], v[68:69], v[38:39]
	v_fma_f64 v[84:85], v[100:101], s[24:25], v[22:23]
	v_add_f64 v[30:31], v[26:27], v[30:31]
	v_add_f64 v[106:107], v[60:61], -v[50:51]
	v_add_f64 v[108:109], v[64:65], v[42:43]
	v_mul_f64 v[86:87], v[102:103], s[16:17]
	v_fma_f64 v[88:89], v[104:105], s[24:25], -v[72:73]
	v_add_f64 v[74:75], v[24:25], v[74:75]
	v_fma_f64 v[18:19], v[20:21], s[20:21], -v[18:19]
	s_mov_b32 s18, 0x7f775887
	s_mov_b32 s13, 0x3fed1bb4
	;; [unrolled: 1-line block ×4, first 2 shown]
	v_add_f64 v[58:59], v[52:53], -v[44:45]
	v_mul_f64 v[6:7], v[62:63], s[12:13]
	v_add_f64 v[36:37], v[60:61], v[50:51]
	v_fma_f64 v[90:91], v[80:81], s[18:19], v[12:13]
	v_add_f64 v[30:31], v[84:85], v[30:31]
	v_add_f64 v[110:111], v[54:55], -v[48:49]
	v_add_f64 v[112:113], v[56:57], v[46:47]
	v_mul_f64 v[84:85], v[106:107], s[12:13]
	v_fma_f64 v[92:93], v[108:109], s[18:19], -v[86:87]
	v_add_f64 v[74:75], v[88:89], v[74:75]
	v_fma_f64 v[22:23], v[100:101], s[24:25], -v[22:23]
	v_add_f64 v[18:19], v[26:27], v[18:19]
	s_mov_b32 s4, 0x43842ef
	s_mov_b32 s14, 0xd9c712b6
	;; [unrolled: 1-line block ×4, first 2 shown]
	v_add_f64 v[40:41], v[54:55], v[48:49]
	v_mul_f64 v[0:1], v[58:59], s[4:5]
	v_fma_f64 v[88:89], v[36:37], s[14:15], v[6:7]
	v_add_f64 v[30:31], v[90:91], v[30:31]
	v_add_f64 v[114:115], v[52:53], v[44:45]
	v_mul_f64 v[90:91], v[110:111], s[4:5]
	v_fma_f64 v[94:95], v[112:113], s[14:15], -v[84:85]
	v_add_f64 v[74:75], v[92:93], v[74:75]
	v_fma_f64 v[12:13], v[80:81], s[18:19], -v[12:13]
	v_add_f64 v[18:19], v[22:23], v[18:19]
	s_mov_b32 s26, 0x640f44db
	s_mov_b32 s27, 0xbfc2375f
	v_fma_f64 v[22:23], v[40:41], s[26:27], v[0:1]
	v_add_f64 v[30:31], v[88:89], v[30:31]
	v_fma_f64 v[88:89], v[114:115], s[26:27], -v[90:91]
	v_add_f64 v[74:75], v[94:95], v[74:75]
	v_fma_f64 v[6:7], v[36:37], s[14:15], -v[6:7]
	v_add_f64 v[12:13], v[12:13], v[18:19]
	v_fma_f64 v[18:19], v[96:97], s[20:21], v[28:29]
	s_mov_b32 s35, 0x3fefac9e
	s_mov_b32 s34, s4
	v_add_f64 v[30:31], v[22:23], v[30:31]
	v_fma_f64 v[22:23], v[104:105], s[24:25], v[72:73]
	v_add_f64 v[28:29], v[88:89], v[74:75]
	v_mul_f64 v[72:73], v[16:17], s[16:17]
	v_fma_f64 v[74:75], v[112:113], s[14:15], v[84:85]
	v_add_f64 v[18:19], v[24:25], v[18:19]
	v_mul_f64 v[84:85], v[8:9], s[16:17]
	v_add_f64 v[6:7], v[6:7], v[12:13]
	v_fma_f64 v[12:13], v[114:115], s[26:27], v[90:91]
	v_mul_f64 v[88:89], v[14:15], s[34:35]
	s_mov_b32 s31, 0xbfe14ced
	v_fma_f64 v[90:91], v[20:21], s[18:19], v[72:73]
	s_mov_b32 s30, s28
	v_add_f64 v[18:19], v[22:23], v[18:19]
	v_mul_f64 v[22:23], v[76:77], s[34:35]
	v_fma_f64 v[92:93], v[96:97], s[18:19], -v[84:85]
	v_fma_f64 v[86:87], v[108:109], s[18:19], v[86:87]
	v_mul_f64 v[94:95], v[82:83], s[30:31]
	v_fma_f64 v[98:99], v[100:101], s[26:27], v[88:89]
	v_add_f64 v[90:91], v[26:27], v[90:91]
	v_mul_f64 v[116:117], v[102:103], s[30:31]
	v_fma_f64 v[72:73], v[20:21], s[18:19], -v[72:73]
	v_fma_f64 v[118:119], v[104:105], s[26:27], -v[22:23]
	v_add_f64 v[92:93], v[24:25], v[92:93]
	v_add_f64 v[18:19], v[86:87], v[18:19]
	v_mul_f64 v[86:87], v[62:63], s[22:23]
	v_fma_f64 v[120:121], v[80:81], s[24:25], v[94:95]
	v_add_f64 v[90:91], v[98:99], v[90:91]
	v_mul_f64 v[98:99], v[106:107], s[22:23]
	v_fma_f64 v[122:123], v[108:109], s[24:25], -v[116:117]
	v_fma_f64 v[88:89], v[100:101], s[26:27], -v[88:89]
	v_add_f64 v[92:93], v[118:119], v[92:93]
	v_add_f64 v[72:73], v[26:27], v[72:73]
	v_fma_f64 v[0:1], v[40:41], s[26:27], -v[0:1]
	v_mul_f64 v[118:119], v[58:59], s[12:13]
	v_fma_f64 v[124:125], v[36:37], s[20:21], v[86:87]
	v_add_f64 v[90:91], v[120:121], v[90:91]
	v_mul_f64 v[120:121], v[110:111], s[12:13]
	v_fma_f64 v[126:127], v[112:113], s[20:21], -v[98:99]
	v_add_f64 v[92:93], v[122:123], v[92:93]
	v_add_f64 v[18:19], v[74:75], v[18:19]
	v_fma_f64 v[94:95], v[80:81], s[24:25], -v[94:95]
	v_add_f64 v[72:73], v[88:89], v[72:73]
	v_fma_f64 v[84:85], v[96:97], s[18:19], v[84:85]
	v_fma_f64 v[88:89], v[40:41], s[14:15], v[118:119]
	v_add_f64 v[90:91], v[124:125], v[90:91]
	v_fma_f64 v[122:123], v[114:115], s[14:15], -v[120:121]
	v_add_f64 v[92:93], v[126:127], v[92:93]
	v_add_f64 v[74:75], v[0:1], v[6:7]
	v_fma_f64 v[0:1], v[36:37], s[20:21], -v[86:87]
	v_add_f64 v[6:7], v[94:95], v[72:73]
	v_add_f64 v[72:73], v[12:13], v[18:19]
	v_fma_f64 v[12:13], v[104:105], s[26:27], v[22:23]
	v_add_f64 v[18:19], v[24:25], v[84:85]
	v_add_f64 v[86:87], v[88:89], v[90:91]
	;; [unrolled: 1-line block ×3, first 2 shown]
	v_mul_f64 v[88:89], v[16:17], s[4:5]
	v_mul_f64 v[92:93], v[8:9], s[4:5]
	v_add_f64 v[0:1], v[0:1], v[6:7]
	v_fma_f64 v[6:7], v[108:109], s[24:25], v[116:117]
	s_mov_b32 s37, 0x3fd207e7
	v_add_f64 v[12:13], v[12:13], v[18:19]
	s_mov_b32 s36, s22
	v_mul_f64 v[18:19], v[14:15], s[36:37]
	v_fma_f64 v[90:91], v[20:21], s[26:27], v[88:89]
	v_fma_f64 v[94:95], v[112:113], s[20:21], v[98:99]
	v_mul_f64 v[116:117], v[76:77], s[36:37]
	v_fma_f64 v[98:99], v[96:97], s[26:27], -v[92:93]
	v_fma_f64 v[22:23], v[40:41], s[14:15], -v[118:119]
	v_add_f64 v[6:7], v[6:7], v[12:13]
	v_fma_f64 v[12:13], v[20:21], s[26:27], -v[88:89]
	v_mul_f64 v[88:89], v[82:83], s[12:13]
	v_fma_f64 v[118:119], v[100:101], s[20:21], v[18:19]
	v_add_f64 v[90:91], v[26:27], v[90:91]
	v_mul_f64 v[122:123], v[102:103], s[12:13]
	v_fma_f64 v[124:125], v[104:105], s[20:21], -v[116:117]
	v_add_f64 v[98:99], v[24:25], v[98:99]
	v_fma_f64 v[18:19], v[100:101], s[20:21], -v[18:19]
	v_add_f64 v[12:13], v[26:27], v[12:13]
	v_mul_f64 v[126:127], v[62:63], s[30:31]
	v_fma_f64 v[128:129], v[80:81], s[14:15], v[88:89]
	v_add_f64 v[90:91], v[118:119], v[90:91]
	v_mul_f64 v[118:119], v[106:107], s[30:31]
	v_fma_f64 v[130:131], v[108:109], s[14:15], -v[122:123]
	v_add_f64 v[98:99], v[124:125], v[98:99]
	v_fma_f64 v[88:89], v[80:81], s[14:15], -v[88:89]
	v_add_f64 v[12:13], v[18:19], v[12:13]
	;; [unrolled: 8-line block ×3, first 2 shown]
	v_fma_f64 v[88:89], v[114:115], s[14:15], v[120:121]
	v_add_f64 v[6:7], v[94:95], v[6:7]
	v_fma_f64 v[94:95], v[40:41], s[18:19], v[18:19]
	v_add_f64 v[120:121], v[124:125], v[90:91]
	v_fma_f64 v[124:125], v[114:115], s[18:19], -v[128:129]
	v_add_f64 v[98:99], v[132:133], v[98:99]
	v_fma_f64 v[18:19], v[40:41], s[18:19], -v[18:19]
	v_add_f64 v[12:13], v[126:127], v[12:13]
	s_mov_b32 s13, 0xbfed1bb4
	v_add_f64 v[10:11], v[26:27], v[10:11]
	v_add_f64 v[2:3], v[24:25], v[2:3]
	;; [unrolled: 1-line block ×4, first 2 shown]
	v_mul_f64 v[0:1], v[16:17], s[12:13]
	v_fma_f64 v[6:7], v[96:97], s[26:27], v[92:93]
	v_add_f64 v[92:93], v[124:125], v[98:99]
	v_add_f64 v[98:99], v[18:19], v[12:13]
	v_mul_f64 v[12:13], v[8:9], s[12:13]
	v_add_f64 v[4:5], v[10:11], v[4:5]
	v_add_f64 v[2:3], v[2:3], v[78:79]
	v_fma_f64 v[18:19], v[104:105], s[20:21], v[116:117]
	v_mul_f64 v[22:23], v[14:15], s[16:17]
	v_fma_f64 v[116:117], v[20:21], s[14:15], v[0:1]
	v_add_f64 v[6:7], v[24:25], v[6:7]
	v_mul_f64 v[124:125], v[76:77], s[16:17]
	v_fma_f64 v[126:127], v[96:97], s[14:15], -v[12:13]
	v_fma_f64 v[0:1], v[20:21], s[14:15], -v[0:1]
	v_add_f64 v[4:5], v[4:5], v[68:69]
	v_add_f64 v[2:3], v[2:3], v[64:65]
	;; [unrolled: 1-line block ×3, first 2 shown]
	v_fma_f64 v[120:121], v[114:115], s[18:19], v[128:129]
	v_fma_f64 v[122:123], v[108:109], s[14:15], v[122:123]
	v_mul_f64 v[128:129], v[82:83], s[36:37]
	v_fma_f64 v[130:131], v[100:101], s[18:19], v[22:23]
	v_add_f64 v[116:117], v[26:27], v[116:117]
	v_add_f64 v[6:7], v[18:19], v[6:7]
	v_fma_f64 v[18:19], v[112:113], s[24:25], v[118:119]
	v_mul_f64 v[118:119], v[102:103], s[36:37]
	v_fma_f64 v[132:133], v[104:105], s[18:19], -v[124:125]
	v_add_f64 v[126:127], v[24:25], v[126:127]
	v_fma_f64 v[22:23], v[100:101], s[18:19], -v[22:23]
	v_add_f64 v[0:1], v[26:27], v[0:1]
	v_add_f64 v[4:5], v[4:5], v[60:61]
	;; [unrolled: 1-line block ×3, first 2 shown]
	v_mul_f64 v[134:135], v[62:63], s[34:35]
	v_fma_f64 v[136:137], v[80:81], s[20:21], v[128:129]
	v_add_f64 v[116:117], v[130:131], v[116:117]
	v_add_f64 v[6:7], v[122:123], v[6:7]
	v_fma_f64 v[130:131], v[108:109], s[20:21], -v[118:119]
	v_add_f64 v[126:127], v[132:133], v[126:127]
	v_mul_f64 v[132:133], v[58:59], s[28:29]
	v_fma_f64 v[128:129], v[80:81], s[20:21], -v[128:129]
	v_fma_f64 v[12:13], v[96:97], s[14:15], v[12:13]
	v_add_f64 v[0:1], v[22:23], v[0:1]
	v_mul_f64 v[16:17], v[16:17], s[30:31]
	v_mul_f64 v[8:9], v[8:9], s[30:31]
	v_add_f64 v[4:5], v[4:5], v[54:55]
	v_add_f64 v[2:3], v[2:3], v[52:53]
	;; [unrolled: 1-line block ×4, first 2 shown]
	v_fma_f64 v[18:19], v[40:41], s[24:25], v[132:133]
	v_fma_f64 v[130:131], v[36:37], s[26:27], -v[134:135]
	v_fma_f64 v[124:125], v[104:105], s[18:19], v[124:125]
	v_add_f64 v[12:13], v[24:25], v[12:13]
	v_add_f64 v[0:1], v[128:129], v[0:1]
	v_fma_f64 v[128:129], v[40:41], s[24:25], -v[132:133]
	v_mul_f64 v[14:15], v[14:15], s[12:13]
	v_fma_f64 v[132:133], v[20:21], s[24:25], v[16:17]
	v_fma_f64 v[16:17], v[20:21], s[24:25], -v[16:17]
	v_mul_f64 v[20:21], v[76:77], s[12:13]
	v_fma_f64 v[52:53], v[96:97], s[24:25], v[8:9]
	v_fma_f64 v[8:9], v[96:97], s[24:25], -v[8:9]
	v_add_f64 v[4:5], v[4:5], v[48:49]
	v_add_f64 v[2:3], v[2:3], v[44:45]
	;; [unrolled: 1-line block ×4, first 2 shown]
	v_mul_f64 v[82:83], v[82:83], s[4:5]
	v_fma_f64 v[10:11], v[100:101], s[14:15], v[14:15]
	v_add_f64 v[124:125], v[26:27], v[132:133]
	v_mul_f64 v[54:55], v[102:103], s[4:5]
	v_fma_f64 v[14:15], v[100:101], s[14:15], -v[14:15]
	v_add_f64 v[16:17], v[26:27], v[16:17]
	v_fma_f64 v[26:27], v[104:105], s[14:15], v[20:21]
	v_add_f64 v[44:45], v[24:25], v[52:53]
	v_fma_f64 v[20:21], v[104:105], s[14:15], -v[20:21]
	v_add_f64 v[8:9], v[24:25], v[8:9]
	v_add_f64 v[4:5], v[4:5], v[50:51]
	;; [unrolled: 1-line block ×4, first 2 shown]
	v_mul_f64 v[0:1], v[62:63], s[16:17]
	v_mul_f64 v[60:61], v[106:107], s[16:17]
	v_fma_f64 v[24:25], v[80:81], s[26:27], -v[82:83]
	v_add_f64 v[14:15], v[14:15], v[16:17]
	v_fma_f64 v[16:17], v[108:109], s[26:27], v[54:55]
	v_add_f64 v[26:27], v[26:27], v[44:45]
	v_mul_f64 v[122:123], v[106:107], s[34:35]
	v_fma_f64 v[118:119], v[108:109], s[20:21], v[118:119]
	v_fma_f64 v[62:63], v[80:81], s[26:27], v[82:83]
	v_add_f64 v[10:11], v[10:11], v[124:125]
	v_fma_f64 v[44:45], v[108:109], s[26:27], -v[54:55]
	v_add_f64 v[8:9], v[20:21], v[8:9]
	v_add_f64 v[4:5], v[4:5], v[38:39]
	v_add_f64 v[2:3], v[2:3], v[42:43]
	v_mul_f64 v[58:59], v[58:59], s[22:23]
	v_fma_f64 v[68:69], v[36:37], s[18:19], v[0:1]
	v_mul_f64 v[56:57], v[110:111], s[22:23]
	v_fma_f64 v[0:1], v[36:37], s[18:19], -v[0:1]
	v_add_f64 v[14:15], v[24:25], v[14:15]
	v_fma_f64 v[20:21], v[112:113], s[18:19], v[60:61]
	v_add_f64 v[16:17], v[16:17], v[26:27]
	v_add_f64 v[116:117], v[136:137], v[116:117]
	v_mul_f64 v[136:137], v[110:111], s[28:29]
	v_fma_f64 v[140:141], v[112:113], s[26:27], -v[122:123]
	v_fma_f64 v[122:123], v[112:113], s[26:27], v[122:123]
	v_add_f64 v[12:13], v[118:119], v[12:13]
	v_fma_f64 v[138:139], v[36:37], s[26:27], v[134:135]
	v_add_f64 v[10:11], v[62:63], v[10:11]
	v_fma_f64 v[24:25], v[112:113], s[18:19], -v[60:61]
	v_add_f64 v[8:9], v[44:45], v[8:9]
	v_add_f64 v[4:5], v[4:5], v[34:35]
	;; [unrolled: 1-line block ×3, first 2 shown]
	v_fma_f64 v[26:27], v[40:41], s[20:21], -v[58:59]
	v_add_f64 v[0:1], v[0:1], v[14:15]
	v_fma_f64 v[14:15], v[114:115], s[20:21], v[56:57]
	v_add_f64 v[16:17], v[20:21], v[16:17]
	v_fma_f64 v[64:65], v[114:115], s[24:25], v[136:137]
	v_add_f64 v[12:13], v[122:123], v[12:13]
	v_add_f64 v[22:23], v[138:139], v[116:117]
	v_fma_f64 v[116:117], v[114:115], s[24:25], -v[136:137]
	v_add_f64 v[126:127], v[140:141], v[126:127]
	v_fma_f64 v[20:21], v[40:41], s[20:21], v[58:59]
	v_add_f64 v[10:11], v[68:69], v[10:11]
	v_fma_f64 v[40:41], v[114:115], s[20:21], -v[56:57]
	v_add_f64 v[8:9], v[24:25], v[8:9]
	v_add_f64 v[34:35], v[4:5], v[32:33]
	;; [unrolled: 1-line block ×11, first 2 shown]
	ds_write_b128 v255, v[32:35]
	ds_write_b128 v255, v[24:27] offset:2352
	ds_write_b128 v255, v[76:79] offset:4704
	;; [unrolled: 1-line block ×10, first 2 shown]
.LBB0_21:
	s_or_b64 exec, exec, s[2:3]
	s_waitcnt lgkmcnt(0)
	s_barrier
	ds_read_b128 v[24:27], v255
	ds_read_b128 v[28:31], v255 offset:3696
	buffer_load_dword v9, off, s[44:47], 0 offset:16 ; 4-byte Folded Reload
	buffer_load_dword v10, off, s[44:47], 0 offset:20 ; 4-byte Folded Reload
	buffer_load_dword v11, off, s[44:47], 0 offset:24 ; 4-byte Folded Reload
	buffer_load_dword v12, off, s[44:47], 0 offset:28 ; 4-byte Folded Reload
	v_mad_u64_u32 v[0:1], s[2:3], s10, v203, 0
	v_mad_u64_u32 v[7:8], s[2:3], s8, v158, 0
	ds_read_b128 v[32:35], v255 offset:12320
	s_waitcnt vmcnt(0) lgkmcnt(2)
	v_mul_f64 v[2:3], v[11:12], v[26:27]
	v_mad_u64_u32 v[4:5], s[2:3], s11, v203, v[1:2]
	v_mul_f64 v[5:6], v[11:12], v[24:25]
	v_fma_f64 v[2:3], v[9:10], v[24:25], v[2:3]
	v_mov_b32_e32 v1, v4
	s_mov_b32 s2, 0x929a339d
	s_mov_b32 s3, 0x3f4443c2
	v_lshlrev_b64 v[0:1], 4, v[0:1]
	v_fma_f64 v[4:5], v[9:10], v[26:27], -v[5:6]
	ds_read_b128 v[24:27], v255 offset:8624
	buffer_load_dword v11, off, s[44:47], 0 offset:32 ; 4-byte Folded Reload
	buffer_load_dword v12, off, s[44:47], 0 offset:36 ; 4-byte Folded Reload
	buffer_load_dword v13, off, s[44:47], 0 offset:40 ; 4-byte Folded Reload
	buffer_load_dword v14, off, s[44:47], 0 offset:44 ; 4-byte Folded Reload
	v_mul_f64 v[20:21], v[2:3], s[2:3]
	v_mov_b32_e32 v6, v8
	v_mad_u64_u32 v[8:9], s[4:5], s9, v158, v[6:7]
	v_mov_b32_e32 v6, s7
	v_mul_f64 v[22:23], v[4:5], s[2:3]
	v_add_co_u32_e32 v9, vcc, s6, v0
	v_addc_co_u32_e32 v10, vcc, v6, v1, vcc
	v_lshlrev_b64 v[0:1], 4, v[7:8]
	s_mul_i32 s4, s9, 0x21b
	v_add_co_u32_e32 v8, vcc, v9, v0
	v_addc_co_u32_e32 v9, vcc, v10, v1, vcc
	global_store_dwordx4 v[8:9], v[20:23], off
	s_mul_hi_u32 s5, s8, 0x21b
	s_add_i32 s5, s5, s4
	s_mul_i32 s4, s8, 0x21b
	s_lshl_b64 s[4:5], s[4:5], 4
	v_mov_b32_e32 v16, s5
	v_add_co_u32_e32 v8, vcc, s4, v8
	v_addc_co_u32_e32 v9, vcc, v9, v16, vcc
	s_mul_hi_u32 s7, s8, 0xfffffcb1
	s_mul_i32 s6, s9, 0xfffffcb1
	s_sub_i32 s7, s7, s8
	s_add_i32 s7, s7, s6
	s_mul_i32 s6, s8, 0xfffffcb1
	s_lshl_b64 s[6:7], s[6:7], 4
	v_mov_b32_e32 v15, s7
	s_waitcnt vmcnt(1) lgkmcnt(0)
	v_mul_f64 v[2:3], v[13:14], v[26:27]
	v_mul_f64 v[4:5], v[13:14], v[24:25]
	v_fma_f64 v[6:7], v[11:12], v[24:25], v[2:3]
	v_fma_f64 v[4:5], v[11:12], v[26:27], -v[4:5]
	ds_read_b128 v[0:3], v255 offset:17248
	ds_read_b128 v[24:27], v255 offset:20944
	v_mul_f64 v[20:21], v[6:7], s[2:3]
	v_mul_f64 v[22:23], v[4:5], s[2:3]
	s_waitcnt lgkmcnt(1)
	v_mul_f64 v[4:5], v[217:218], v[2:3]
	v_mul_f64 v[6:7], v[217:218], v[0:1]
	global_store_dwordx4 v[8:9], v[20:23], off
	v_fma_f64 v[0:1], v[215:216], v[0:1], v[4:5]
	v_fma_f64 v[2:3], v[215:216], v[2:3], -v[6:7]
	v_add_co_u32_e32 v8, vcc, s4, v8
	v_addc_co_u32_e32 v9, vcc, v9, v16, vcc
	v_mul_f64 v[4:5], v[221:222], v[30:31]
	v_mul_f64 v[6:7], v[221:222], v[28:29]
	;; [unrolled: 1-line block ×4, first 2 shown]
	v_add_co_u32_e32 v14, vcc, s6, v8
	v_addc_co_u32_e32 v15, vcc, v9, v15, vcc
	v_fma_f64 v[4:5], v[219:220], v[28:29], v[4:5]
	v_fma_f64 v[6:7], v[219:220], v[30:31], -v[6:7]
	global_store_dwordx4 v[8:9], v[0:3], off
	buffer_load_dword v17, off, s[44:47], 0 ; 4-byte Folded Reload
	buffer_load_dword v18, off, s[44:47], 0 offset:4 ; 4-byte Folded Reload
	buffer_load_dword v19, off, s[44:47], 0 offset:8 ; 4-byte Folded Reload
	;; [unrolled: 1-line block ×3, first 2 shown]
	v_mul_f64 v[0:1], v[4:5], s[2:3]
	v_mul_f64 v[2:3], v[6:7], s[2:3]
	;; [unrolled: 1-line block ×4, first 2 shown]
	global_store_dwordx4 v[14:15], v[0:3], off
	v_fma_f64 v[4:5], v[223:224], v[32:33], v[4:5]
	v_fma_f64 v[6:7], v[223:224], v[34:35], -v[6:7]
	v_add_co_u32_e32 v0, vcc, s4, v14
	v_addc_co_u32_e32 v1, vcc, v15, v16, vcc
	v_mul_f64 v[4:5], v[4:5], s[2:3]
	v_mul_f64 v[6:7], v[6:7], s[2:3]
	global_store_dwordx4 v[0:1], v[4:7], off
	v_add_co_u32_e32 v0, vcc, s4, v0
	v_addc_co_u32_e32 v1, vcc, v1, v16, vcc
	s_waitcnt vmcnt(2) lgkmcnt(0)
	v_mul_f64 v[10:11], v[19:20], v[26:27]
	v_mul_f64 v[12:13], v[19:20], v[24:25]
	v_fma_f64 v[10:11], v[17:18], v[24:25], v[10:11]
	v_fma_f64 v[12:13], v[17:18], v[26:27], -v[12:13]
	v_mul_f64 v[8:9], v[10:11], s[2:3]
	v_mul_f64 v[10:11], v[12:13], s[2:3]
	global_store_dwordx4 v[0:1], v[8:11], off
	s_and_b64 exec, exec, s[0:1]
	s_cbranch_execz .LBB0_23
; %bb.22:
	v_add_co_u32_e32 v10, vcc, 0x1000, v156
	v_addc_co_u32_e32 v11, vcc, 0, v157, vcc
	s_movk_i32 s0, 0x3000
	v_add_co_u32_e32 v12, vcc, s0, v156
	v_addc_co_u32_e32 v13, vcc, 0, v157, vcc
	s_movk_i32 s0, 0x6000
	global_load_dwordx4 v[2:5], v[10:11], off offset:3296
	global_load_dwordx4 v[6:9], v[12:13], off offset:3728
	v_add_co_u32_e32 v10, vcc, s0, v156
	v_addc_co_u32_e32 v11, vcc, 0, v157, vcc
	global_load_dwordx4 v[10:13], v[10:11], off offset:64
	ds_read_b128 v[14:17], v255 offset:7392
	ds_read_b128 v[18:21], v255 offset:16016
	;; [unrolled: 1-line block ×3, first 2 shown]
	v_mov_b32_e32 v32, s7
	v_mov_b32_e32 v33, s5
	s_waitcnt vmcnt(2) lgkmcnt(2)
	v_mul_f64 v[26:27], v[16:17], v[4:5]
	v_mul_f64 v[4:5], v[14:15], v[4:5]
	s_waitcnt vmcnt(1) lgkmcnt(1)
	v_mul_f64 v[28:29], v[20:21], v[8:9]
	v_mul_f64 v[8:9], v[18:19], v[8:9]
	;; [unrolled: 3-line block ×3, first 2 shown]
	v_fma_f64 v[14:15], v[14:15], v[2:3], v[26:27]
	v_fma_f64 v[2:3], v[2:3], v[16:17], -v[4:5]
	v_fma_f64 v[4:5], v[18:19], v[6:7], v[28:29]
	v_fma_f64 v[6:7], v[6:7], v[20:21], -v[8:9]
	;; [unrolled: 2-line block ×3, first 2 shown]
	v_add_co_u32_e32 v12, vcc, s6, v0
	v_addc_co_u32_e32 v13, vcc, v1, v32, vcc
	v_mul_f64 v[0:1], v[14:15], s[2:3]
	v_mul_f64 v[2:3], v[2:3], s[2:3]
	;; [unrolled: 1-line block ×6, first 2 shown]
	v_add_co_u32_e32 v14, vcc, s4, v12
	v_addc_co_u32_e32 v15, vcc, v13, v33, vcc
	v_add_co_u32_e32 v16, vcc, s4, v14
	v_addc_co_u32_e32 v17, vcc, v15, v33, vcc
	global_store_dwordx4 v[12:13], v[0:3], off
	global_store_dwordx4 v[14:15], v[4:7], off
	;; [unrolled: 1-line block ×3, first 2 shown]
.LBB0_23:
	s_endpgm
	.section	.rodata,"a",@progbits
	.p2align	6, 0x0
	.amdhsa_kernel bluestein_single_fwd_len1617_dim1_dp_op_CI_CI
		.amdhsa_group_segment_fixed_size 25872
		.amdhsa_private_segment_fixed_size 492
		.amdhsa_kernarg_size 104
		.amdhsa_user_sgpr_count 6
		.amdhsa_user_sgpr_private_segment_buffer 1
		.amdhsa_user_sgpr_dispatch_ptr 0
		.amdhsa_user_sgpr_queue_ptr 0
		.amdhsa_user_sgpr_kernarg_segment_ptr 1
		.amdhsa_user_sgpr_dispatch_id 0
		.amdhsa_user_sgpr_flat_scratch_init 0
		.amdhsa_user_sgpr_private_segment_size 0
		.amdhsa_uses_dynamic_stack 0
		.amdhsa_system_sgpr_private_segment_wavefront_offset 1
		.amdhsa_system_sgpr_workgroup_id_x 1
		.amdhsa_system_sgpr_workgroup_id_y 0
		.amdhsa_system_sgpr_workgroup_id_z 0
		.amdhsa_system_sgpr_workgroup_info 0
		.amdhsa_system_vgpr_workitem_id 0
		.amdhsa_next_free_vgpr 256
		.amdhsa_next_free_sgpr 48
		.amdhsa_reserve_vcc 1
		.amdhsa_reserve_flat_scratch 0
		.amdhsa_float_round_mode_32 0
		.amdhsa_float_round_mode_16_64 0
		.amdhsa_float_denorm_mode_32 3
		.amdhsa_float_denorm_mode_16_64 3
		.amdhsa_dx10_clamp 1
		.amdhsa_ieee_mode 1
		.amdhsa_fp16_overflow 0
		.amdhsa_exception_fp_ieee_invalid_op 0
		.amdhsa_exception_fp_denorm_src 0
		.amdhsa_exception_fp_ieee_div_zero 0
		.amdhsa_exception_fp_ieee_overflow 0
		.amdhsa_exception_fp_ieee_underflow 0
		.amdhsa_exception_fp_ieee_inexact 0
		.amdhsa_exception_int_div_zero 0
	.end_amdhsa_kernel
	.text
.Lfunc_end0:
	.size	bluestein_single_fwd_len1617_dim1_dp_op_CI_CI, .Lfunc_end0-bluestein_single_fwd_len1617_dim1_dp_op_CI_CI
                                        ; -- End function
	.section	.AMDGPU.csdata,"",@progbits
; Kernel info:
; codeLenInByte = 17296
; NumSgprs: 52
; NumVgprs: 256
; ScratchSize: 492
; MemoryBound: 0
; FloatMode: 240
; IeeeMode: 1
; LDSByteSize: 25872 bytes/workgroup (compile time only)
; SGPRBlocks: 6
; VGPRBlocks: 63
; NumSGPRsForWavesPerEU: 52
; NumVGPRsForWavesPerEU: 256
; Occupancy: 1
; WaveLimiterHint : 1
; COMPUTE_PGM_RSRC2:SCRATCH_EN: 1
; COMPUTE_PGM_RSRC2:USER_SGPR: 6
; COMPUTE_PGM_RSRC2:TRAP_HANDLER: 0
; COMPUTE_PGM_RSRC2:TGID_X_EN: 1
; COMPUTE_PGM_RSRC2:TGID_Y_EN: 0
; COMPUTE_PGM_RSRC2:TGID_Z_EN: 0
; COMPUTE_PGM_RSRC2:TIDIG_COMP_CNT: 0
	.type	__hip_cuid_eebf6cff830697c5,@object ; @__hip_cuid_eebf6cff830697c5
	.section	.bss,"aw",@nobits
	.globl	__hip_cuid_eebf6cff830697c5
__hip_cuid_eebf6cff830697c5:
	.byte	0                               ; 0x0
	.size	__hip_cuid_eebf6cff830697c5, 1

	.ident	"AMD clang version 19.0.0git (https://github.com/RadeonOpenCompute/llvm-project roc-6.4.0 25133 c7fe45cf4b819c5991fe208aaa96edf142730f1d)"
	.section	".note.GNU-stack","",@progbits
	.addrsig
	.addrsig_sym __hip_cuid_eebf6cff830697c5
	.amdgpu_metadata
---
amdhsa.kernels:
  - .args:
      - .actual_access:  read_only
        .address_space:  global
        .offset:         0
        .size:           8
        .value_kind:     global_buffer
      - .actual_access:  read_only
        .address_space:  global
        .offset:         8
        .size:           8
        .value_kind:     global_buffer
      - .actual_access:  read_only
        .address_space:  global
        .offset:         16
        .size:           8
        .value_kind:     global_buffer
      - .actual_access:  read_only
        .address_space:  global
        .offset:         24
        .size:           8
        .value_kind:     global_buffer
      - .actual_access:  read_only
        .address_space:  global
        .offset:         32
        .size:           8
        .value_kind:     global_buffer
      - .offset:         40
        .size:           8
        .value_kind:     by_value
      - .address_space:  global
        .offset:         48
        .size:           8
        .value_kind:     global_buffer
      - .address_space:  global
        .offset:         56
        .size:           8
        .value_kind:     global_buffer
      - .address_space:  global
        .offset:         64
        .size:           8
        .value_kind:     global_buffer
      - .address_space:  global
        .offset:         72
        .size:           8
        .value_kind:     global_buffer
      - .offset:         80
        .size:           4
        .value_kind:     by_value
      - .address_space:  global
        .offset:         88
        .size:           8
        .value_kind:     global_buffer
      - .address_space:  global
        .offset:         96
        .size:           8
        .value_kind:     global_buffer
    .group_segment_fixed_size: 25872
    .kernarg_segment_align: 8
    .kernarg_segment_size: 104
    .language:       OpenCL C
    .language_version:
      - 2
      - 0
    .max_flat_workgroup_size: 231
    .name:           bluestein_single_fwd_len1617_dim1_dp_op_CI_CI
    .private_segment_fixed_size: 492
    .sgpr_count:     52
    .sgpr_spill_count: 0
    .symbol:         bluestein_single_fwd_len1617_dim1_dp_op_CI_CI.kd
    .uniform_work_group_size: 1
    .uses_dynamic_stack: false
    .vgpr_count:     256
    .vgpr_spill_count: 122
    .wavefront_size: 64
amdhsa.target:   amdgcn-amd-amdhsa--gfx906
amdhsa.version:
  - 1
  - 2
...

	.end_amdgpu_metadata
